;; amdgpu-corpus repo=ROCm/composable_kernel kind=compiled arch=gfx1100 opt=O3
	.text
	.amdgcn_target "amdgcn-amd-amdhsa--gfx1100"
	.amdhsa_code_object_version 6
	.section	.text._ZN2ckL12flush_icacheEv,"axG",@progbits,_ZN2ckL12flush_icacheEv,comdat
	.globl	_ZN2ckL12flush_icacheEv         ; -- Begin function _ZN2ckL12flush_icacheEv
	.p2align	8
	.type	_ZN2ckL12flush_icacheEv,@function
_ZN2ckL12flush_icacheEv:                ; @_ZN2ckL12flush_icacheEv
; %bb.0:
	;;#ASMSTART
	s_icache_inv 
	s_nop 0 
	s_nop 0 
	;; [unrolled: 1-line block ×16, first 2 shown]
	
	;;#ASMEND
	s_endpgm
	.section	.rodata,"a",@progbits
	.p2align	6, 0x0
	.amdhsa_kernel _ZN2ckL12flush_icacheEv
		.amdhsa_group_segment_fixed_size 0
		.amdhsa_private_segment_fixed_size 0
		.amdhsa_kernarg_size 0
		.amdhsa_user_sgpr_count 15
		.amdhsa_user_sgpr_dispatch_ptr 0
		.amdhsa_user_sgpr_queue_ptr 0
		.amdhsa_user_sgpr_kernarg_segment_ptr 0
		.amdhsa_user_sgpr_dispatch_id 0
		.amdhsa_user_sgpr_private_segment_size 0
		.amdhsa_wavefront_size32 1
		.amdhsa_uses_dynamic_stack 0
		.amdhsa_enable_private_segment 0
		.amdhsa_system_sgpr_workgroup_id_x 1
		.amdhsa_system_sgpr_workgroup_id_y 0
		.amdhsa_system_sgpr_workgroup_id_z 0
		.amdhsa_system_sgpr_workgroup_info 0
		.amdhsa_system_vgpr_workitem_id 0
		.amdhsa_next_free_vgpr 1
		.amdhsa_next_free_sgpr 1
		.amdhsa_reserve_vcc 0
		.amdhsa_float_round_mode_32 0
		.amdhsa_float_round_mode_16_64 0
		.amdhsa_float_denorm_mode_32 3
		.amdhsa_float_denorm_mode_16_64 3
		.amdhsa_dx10_clamp 1
		.amdhsa_ieee_mode 1
		.amdhsa_fp16_overflow 0
		.amdhsa_workgroup_processor_mode 1
		.amdhsa_memory_ordered 1
		.amdhsa_forward_progress 0
		.amdhsa_shared_vgpr_count 0
		.amdhsa_exception_fp_ieee_invalid_op 0
		.amdhsa_exception_fp_denorm_src 0
		.amdhsa_exception_fp_ieee_div_zero 0
		.amdhsa_exception_fp_ieee_overflow 0
		.amdhsa_exception_fp_ieee_underflow 0
		.amdhsa_exception_fp_ieee_inexact 0
		.amdhsa_exception_int_div_zero 0
	.end_amdhsa_kernel
	.section	.text._ZN2ckL12flush_icacheEv,"axG",@progbits,_ZN2ckL12flush_icacheEv,comdat
.Lfunc_end0:
	.size	_ZN2ckL12flush_icacheEv, .Lfunc_end0-_ZN2ckL12flush_icacheEv
                                        ; -- End function
	.section	.AMDGPU.csdata,"",@progbits
; Kernel info:
; codeLenInByte = 344
; NumSgprs: 0
; NumVgprs: 0
; ScratchSize: 0
; MemoryBound: 0
; FloatMode: 240
; IeeeMode: 1
; LDSByteSize: 0 bytes/workgroup (compile time only)
; SGPRBlocks: 0
; VGPRBlocks: 0
; NumSGPRsForWavesPerEU: 1
; NumVGPRsForWavesPerEU: 1
; Occupancy: 16
; WaveLimiterHint : 0
; COMPUTE_PGM_RSRC2:SCRATCH_EN: 0
; COMPUTE_PGM_RSRC2:USER_SGPR: 15
; COMPUTE_PGM_RSRC2:TRAP_HANDLER: 0
; COMPUTE_PGM_RSRC2:TGID_X_EN: 1
; COMPUTE_PGM_RSRC2:TGID_Y_EN: 0
; COMPUTE_PGM_RSRC2:TGID_Z_EN: 0
; COMPUTE_PGM_RSRC2:TIDIG_COMP_CNT: 0
	.section	.text._ZN2ck16kernel_gemm_wmmaINS_17GridwiseGemm_WmmaILi128EttfftLNS_25InMemoryDataOperationEnumE0ENS_16TensorDescriptorINS_5TupleIJNS_5EmbedINS4_IJiiEEENS4_IJiNS_17integral_constantIiLi1EEEEEELb0EEENS_8RightPadIiiLb0EEESC_NS_7UnMergeINS4_IJiNS7_IiLi2EEEEEELb0EEENS_11PassThroughIiEEEEENS4_IJNS_8SequenceIJLi0EEEENSK_IJLi1EEEENSK_IJLi2EEEENSK_IJLi4EEEENSK_IJLi3EEEEEEENS4_IJNSK_IJLi1ELi2EEEESP_SO_NSK_IJLi5ELi6EEEENSK_IJLi7EEEEEEENSK_IJLi5ELi7ELi6EEEElEESW_NS3_INS4_IJSA_SC_SC_EEENS4_IJSL_SM_SN_EEENS4_IJSR_SP_SO_EEENSK_IJLi3ELi4EEEElEENS_16tensor_operation12element_wise11PassThroughES14_S14_Li64ELi128ELi64ELi16ELi16ELi2ELi2ELi4ENSK_IJLi4ELi32ELi1EEEENSK_IJLi1ELi0ELi2EEEES16_Li2ELi2ELi2ELb0ELb1ELb1ES15_S16_S16_Li2ELi2ELi2ELb0ELb1ELb1ELi1ELi1ENSK_IJLi1ELi32ELi1ELi4EEEELi8ELi1ELNS_13LoopSchedulerE0ELNS_15PipelineVersionE0EEEtttSW_SW_NS3_INS4_IJSA_SC_SC_NSD_INS4_IJiNS7_IiLi64EEEEEELb0EEENSD_INS4_IJiNS7_IiLi128EEEEEELb0EEEEEENS4_IJSL_SM_SN_SP_SO_EEENS4_IJSR_SP_SO_SS_NSK_IJLi7ELi8EEEEEEENSK_IJLi5ELi6ELi7ELi8EEEElEES14_S14_S14_NS_31BlockToCTileMap_M00_N0_M01AdaptILi64ELi128ES11_iEELb1EEEvPKT0_PKT1_PT2_T3_T4_T5_T6_T7_T8_T9_,"axG",@progbits,_ZN2ck16kernel_gemm_wmmaINS_17GridwiseGemm_WmmaILi128EttfftLNS_25InMemoryDataOperationEnumE0ENS_16TensorDescriptorINS_5TupleIJNS_5EmbedINS4_IJiiEEENS4_IJiNS_17integral_constantIiLi1EEEEEELb0EEENS_8RightPadIiiLb0EEESC_NS_7UnMergeINS4_IJiNS7_IiLi2EEEEEELb0EEENS_11PassThroughIiEEEEENS4_IJNS_8SequenceIJLi0EEEENSK_IJLi1EEEENSK_IJLi2EEEENSK_IJLi4EEEENSK_IJLi3EEEEEEENS4_IJNSK_IJLi1ELi2EEEESP_SO_NSK_IJLi5ELi6EEEENSK_IJLi7EEEEEEENSK_IJLi5ELi7ELi6EEEElEESW_NS3_INS4_IJSA_SC_SC_EEENS4_IJSL_SM_SN_EEENS4_IJSR_SP_SO_EEENSK_IJLi3ELi4EEEElEENS_16tensor_operation12element_wise11PassThroughES14_S14_Li64ELi128ELi64ELi16ELi16ELi2ELi2ELi4ENSK_IJLi4ELi32ELi1EEEENSK_IJLi1ELi0ELi2EEEES16_Li2ELi2ELi2ELb0ELb1ELb1ES15_S16_S16_Li2ELi2ELi2ELb0ELb1ELb1ELi1ELi1ENSK_IJLi1ELi32ELi1ELi4EEEELi8ELi1ELNS_13LoopSchedulerE0ELNS_15PipelineVersionE0EEEtttSW_SW_NS3_INS4_IJSA_SC_SC_NSD_INS4_IJiNS7_IiLi64EEEEEELb0EEENSD_INS4_IJiNS7_IiLi128EEEEEELb0EEEEEENS4_IJSL_SM_SN_SP_SO_EEENS4_IJSR_SP_SO_SS_NSK_IJLi7ELi8EEEEEEENSK_IJLi5ELi6ELi7ELi8EEEElEES14_S14_S14_NS_31BlockToCTileMap_M00_N0_M01AdaptILi64ELi128ES11_iEELb1EEEvPKT0_PKT1_PT2_T3_T4_T5_T6_T7_T8_T9_,comdat
	.protected	_ZN2ck16kernel_gemm_wmmaINS_17GridwiseGemm_WmmaILi128EttfftLNS_25InMemoryDataOperationEnumE0ENS_16TensorDescriptorINS_5TupleIJNS_5EmbedINS4_IJiiEEENS4_IJiNS_17integral_constantIiLi1EEEEEELb0EEENS_8RightPadIiiLb0EEESC_NS_7UnMergeINS4_IJiNS7_IiLi2EEEEEELb0EEENS_11PassThroughIiEEEEENS4_IJNS_8SequenceIJLi0EEEENSK_IJLi1EEEENSK_IJLi2EEEENSK_IJLi4EEEENSK_IJLi3EEEEEEENS4_IJNSK_IJLi1ELi2EEEESP_SO_NSK_IJLi5ELi6EEEENSK_IJLi7EEEEEEENSK_IJLi5ELi7ELi6EEEElEESW_NS3_INS4_IJSA_SC_SC_EEENS4_IJSL_SM_SN_EEENS4_IJSR_SP_SO_EEENSK_IJLi3ELi4EEEElEENS_16tensor_operation12element_wise11PassThroughES14_S14_Li64ELi128ELi64ELi16ELi16ELi2ELi2ELi4ENSK_IJLi4ELi32ELi1EEEENSK_IJLi1ELi0ELi2EEEES16_Li2ELi2ELi2ELb0ELb1ELb1ES15_S16_S16_Li2ELi2ELi2ELb0ELb1ELb1ELi1ELi1ENSK_IJLi1ELi32ELi1ELi4EEEELi8ELi1ELNS_13LoopSchedulerE0ELNS_15PipelineVersionE0EEEtttSW_SW_NS3_INS4_IJSA_SC_SC_NSD_INS4_IJiNS7_IiLi64EEEEEELb0EEENSD_INS4_IJiNS7_IiLi128EEEEEELb0EEEEEENS4_IJSL_SM_SN_SP_SO_EEENS4_IJSR_SP_SO_SS_NSK_IJLi7ELi8EEEEEEENSK_IJLi5ELi6ELi7ELi8EEEElEES14_S14_S14_NS_31BlockToCTileMap_M00_N0_M01AdaptILi64ELi128ES11_iEELb1EEEvPKT0_PKT1_PT2_T3_T4_T5_T6_T7_T8_T9_ ; -- Begin function _ZN2ck16kernel_gemm_wmmaINS_17GridwiseGemm_WmmaILi128EttfftLNS_25InMemoryDataOperationEnumE0ENS_16TensorDescriptorINS_5TupleIJNS_5EmbedINS4_IJiiEEENS4_IJiNS_17integral_constantIiLi1EEEEEELb0EEENS_8RightPadIiiLb0EEESC_NS_7UnMergeINS4_IJiNS7_IiLi2EEEEEELb0EEENS_11PassThroughIiEEEEENS4_IJNS_8SequenceIJLi0EEEENSK_IJLi1EEEENSK_IJLi2EEEENSK_IJLi4EEEENSK_IJLi3EEEEEEENS4_IJNSK_IJLi1ELi2EEEESP_SO_NSK_IJLi5ELi6EEEENSK_IJLi7EEEEEEENSK_IJLi5ELi7ELi6EEEElEESW_NS3_INS4_IJSA_SC_SC_EEENS4_IJSL_SM_SN_EEENS4_IJSR_SP_SO_EEENSK_IJLi3ELi4EEEElEENS_16tensor_operation12element_wise11PassThroughES14_S14_Li64ELi128ELi64ELi16ELi16ELi2ELi2ELi4ENSK_IJLi4ELi32ELi1EEEENSK_IJLi1ELi0ELi2EEEES16_Li2ELi2ELi2ELb0ELb1ELb1ES15_S16_S16_Li2ELi2ELi2ELb0ELb1ELb1ELi1ELi1ENSK_IJLi1ELi32ELi1ELi4EEEELi8ELi1ELNS_13LoopSchedulerE0ELNS_15PipelineVersionE0EEEtttSW_SW_NS3_INS4_IJSA_SC_SC_NSD_INS4_IJiNS7_IiLi64EEEEEELb0EEENSD_INS4_IJiNS7_IiLi128EEEEEELb0EEEEEENS4_IJSL_SM_SN_SP_SO_EEENS4_IJSR_SP_SO_SS_NSK_IJLi7ELi8EEEEEEENSK_IJLi5ELi6ELi7ELi8EEEElEES14_S14_S14_NS_31BlockToCTileMap_M00_N0_M01AdaptILi64ELi128ES11_iEELb1EEEvPKT0_PKT1_PT2_T3_T4_T5_T6_T7_T8_T9_
	.globl	_ZN2ck16kernel_gemm_wmmaINS_17GridwiseGemm_WmmaILi128EttfftLNS_25InMemoryDataOperationEnumE0ENS_16TensorDescriptorINS_5TupleIJNS_5EmbedINS4_IJiiEEENS4_IJiNS_17integral_constantIiLi1EEEEEELb0EEENS_8RightPadIiiLb0EEESC_NS_7UnMergeINS4_IJiNS7_IiLi2EEEEEELb0EEENS_11PassThroughIiEEEEENS4_IJNS_8SequenceIJLi0EEEENSK_IJLi1EEEENSK_IJLi2EEEENSK_IJLi4EEEENSK_IJLi3EEEEEEENS4_IJNSK_IJLi1ELi2EEEESP_SO_NSK_IJLi5ELi6EEEENSK_IJLi7EEEEEEENSK_IJLi5ELi7ELi6EEEElEESW_NS3_INS4_IJSA_SC_SC_EEENS4_IJSL_SM_SN_EEENS4_IJSR_SP_SO_EEENSK_IJLi3ELi4EEEElEENS_16tensor_operation12element_wise11PassThroughES14_S14_Li64ELi128ELi64ELi16ELi16ELi2ELi2ELi4ENSK_IJLi4ELi32ELi1EEEENSK_IJLi1ELi0ELi2EEEES16_Li2ELi2ELi2ELb0ELb1ELb1ES15_S16_S16_Li2ELi2ELi2ELb0ELb1ELb1ELi1ELi1ENSK_IJLi1ELi32ELi1ELi4EEEELi8ELi1ELNS_13LoopSchedulerE0ELNS_15PipelineVersionE0EEEtttSW_SW_NS3_INS4_IJSA_SC_SC_NSD_INS4_IJiNS7_IiLi64EEEEEELb0EEENSD_INS4_IJiNS7_IiLi128EEEEEELb0EEEEEENS4_IJSL_SM_SN_SP_SO_EEENS4_IJSR_SP_SO_SS_NSK_IJLi7ELi8EEEEEEENSK_IJLi5ELi6ELi7ELi8EEEElEES14_S14_S14_NS_31BlockToCTileMap_M00_N0_M01AdaptILi64ELi128ES11_iEELb1EEEvPKT0_PKT1_PT2_T3_T4_T5_T6_T7_T8_T9_
	.p2align	8
	.type	_ZN2ck16kernel_gemm_wmmaINS_17GridwiseGemm_WmmaILi128EttfftLNS_25InMemoryDataOperationEnumE0ENS_16TensorDescriptorINS_5TupleIJNS_5EmbedINS4_IJiiEEENS4_IJiNS_17integral_constantIiLi1EEEEEELb0EEENS_8RightPadIiiLb0EEESC_NS_7UnMergeINS4_IJiNS7_IiLi2EEEEEELb0EEENS_11PassThroughIiEEEEENS4_IJNS_8SequenceIJLi0EEEENSK_IJLi1EEEENSK_IJLi2EEEENSK_IJLi4EEEENSK_IJLi3EEEEEEENS4_IJNSK_IJLi1ELi2EEEESP_SO_NSK_IJLi5ELi6EEEENSK_IJLi7EEEEEEENSK_IJLi5ELi7ELi6EEEElEESW_NS3_INS4_IJSA_SC_SC_EEENS4_IJSL_SM_SN_EEENS4_IJSR_SP_SO_EEENSK_IJLi3ELi4EEEElEENS_16tensor_operation12element_wise11PassThroughES14_S14_Li64ELi128ELi64ELi16ELi16ELi2ELi2ELi4ENSK_IJLi4ELi32ELi1EEEENSK_IJLi1ELi0ELi2EEEES16_Li2ELi2ELi2ELb0ELb1ELb1ES15_S16_S16_Li2ELi2ELi2ELb0ELb1ELb1ELi1ELi1ENSK_IJLi1ELi32ELi1ELi4EEEELi8ELi1ELNS_13LoopSchedulerE0ELNS_15PipelineVersionE0EEEtttSW_SW_NS3_INS4_IJSA_SC_SC_NSD_INS4_IJiNS7_IiLi64EEEEEELb0EEENSD_INS4_IJiNS7_IiLi128EEEEEELb0EEEEEENS4_IJSL_SM_SN_SP_SO_EEENS4_IJSR_SP_SO_SS_NSK_IJLi7ELi8EEEEEEENSK_IJLi5ELi6ELi7ELi8EEEElEES14_S14_S14_NS_31BlockToCTileMap_M00_N0_M01AdaptILi64ELi128ES11_iEELb1EEEvPKT0_PKT1_PT2_T3_T4_T5_T6_T7_T8_T9_,@function
_ZN2ck16kernel_gemm_wmmaINS_17GridwiseGemm_WmmaILi128EttfftLNS_25InMemoryDataOperationEnumE0ENS_16TensorDescriptorINS_5TupleIJNS_5EmbedINS4_IJiiEEENS4_IJiNS_17integral_constantIiLi1EEEEEELb0EEENS_8RightPadIiiLb0EEESC_NS_7UnMergeINS4_IJiNS7_IiLi2EEEEEELb0EEENS_11PassThroughIiEEEEENS4_IJNS_8SequenceIJLi0EEEENSK_IJLi1EEEENSK_IJLi2EEEENSK_IJLi4EEEENSK_IJLi3EEEEEEENS4_IJNSK_IJLi1ELi2EEEESP_SO_NSK_IJLi5ELi6EEEENSK_IJLi7EEEEEEENSK_IJLi5ELi7ELi6EEEElEESW_NS3_INS4_IJSA_SC_SC_EEENS4_IJSL_SM_SN_EEENS4_IJSR_SP_SO_EEENSK_IJLi3ELi4EEEElEENS_16tensor_operation12element_wise11PassThroughES14_S14_Li64ELi128ELi64ELi16ELi16ELi2ELi2ELi4ENSK_IJLi4ELi32ELi1EEEENSK_IJLi1ELi0ELi2EEEES16_Li2ELi2ELi2ELb0ELb1ELb1ES15_S16_S16_Li2ELi2ELi2ELb0ELb1ELb1ELi1ELi1ENSK_IJLi1ELi32ELi1ELi4EEEELi8ELi1ELNS_13LoopSchedulerE0ELNS_15PipelineVersionE0EEEtttSW_SW_NS3_INS4_IJSA_SC_SC_NSD_INS4_IJiNS7_IiLi64EEEEEELb0EEENSD_INS4_IJiNS7_IiLi128EEEEEELb0EEEEEENS4_IJSL_SM_SN_SP_SO_EEENS4_IJSR_SP_SO_SS_NSK_IJLi7ELi8EEEEEEENSK_IJLi5ELi6ELi7ELi8EEEElEES14_S14_S14_NS_31BlockToCTileMap_M00_N0_M01AdaptILi64ELi128ES11_iEELb1EEEvPKT0_PKT1_PT2_T3_T4_T5_T6_T7_T8_T9_: ; @_ZN2ck16kernel_gemm_wmmaINS_17GridwiseGemm_WmmaILi128EttfftLNS_25InMemoryDataOperationEnumE0ENS_16TensorDescriptorINS_5TupleIJNS_5EmbedINS4_IJiiEEENS4_IJiNS_17integral_constantIiLi1EEEEEELb0EEENS_8RightPadIiiLb0EEESC_NS_7UnMergeINS4_IJiNS7_IiLi2EEEEEELb0EEENS_11PassThroughIiEEEEENS4_IJNS_8SequenceIJLi0EEEENSK_IJLi1EEEENSK_IJLi2EEEENSK_IJLi4EEEENSK_IJLi3EEEEEEENS4_IJNSK_IJLi1ELi2EEEESP_SO_NSK_IJLi5ELi6EEEENSK_IJLi7EEEEEEENSK_IJLi5ELi7ELi6EEEElEESW_NS3_INS4_IJSA_SC_SC_EEENS4_IJSL_SM_SN_EEENS4_IJSR_SP_SO_EEENSK_IJLi3ELi4EEEElEENS_16tensor_operation12element_wise11PassThroughES14_S14_Li64ELi128ELi64ELi16ELi16ELi2ELi2ELi4ENSK_IJLi4ELi32ELi1EEEENSK_IJLi1ELi0ELi2EEEES16_Li2ELi2ELi2ELb0ELb1ELb1ES15_S16_S16_Li2ELi2ELi2ELb0ELb1ELb1ELi1ELi1ENSK_IJLi1ELi32ELi1ELi4EEEELi8ELi1ELNS_13LoopSchedulerE0ELNS_15PipelineVersionE0EEEtttSW_SW_NS3_INS4_IJSA_SC_SC_NSD_INS4_IJiNS7_IiLi64EEEEEELb0EEENSD_INS4_IJiNS7_IiLi128EEEEEELb0EEEEEENS4_IJSL_SM_SN_SP_SO_EEENS4_IJSR_SP_SO_SS_NSK_IJLi7ELi8EEEEEEENSK_IJLi5ELi6ELi7ELi8EEEElEES14_S14_S14_NS_31BlockToCTileMap_M00_N0_M01AdaptILi64ELi128ES11_iEELb1EEEvPKT0_PKT1_PT2_T3_T4_T5_T6_T7_T8_T9_
; %bb.0:
	s_clause 0x1
	s_load_b64 s[2:3], s[0:1], 0xfc
	s_load_b32 s4, s[0:1], 0x104
	s_abs_i32 s9, s15
	v_lshrrev_b32_e32 v156, 1, v0
	s_mov_b32 s31, 0x31004000
	v_bfe_u32 v89, v0, 1, 3
	v_mov_b32_e32 v57, 0
	v_and_b32_e32 v87, 0xfc, v0
	v_and_b32_e32 v88, 0x7e, v156
	s_mov_b32 s39, s31
	s_delay_alu instid0(VALU_DEP_3)
	v_dual_mov_b32 v35, v57 :: v_dual_and_b32 v90, 32, v0
	v_mov_b32_e32 v58, v57
	v_dual_mov_b32 v33, v57 :: v_dual_and_b32 v158, 15, v0
	v_and_b32_e32 v91, 0xc0, v0
	v_dual_mov_b32 v37, v57 :: v_dual_and_b32 v92, 3, v0
	v_mov_b32_e32 v8, v57
	v_mov_b32_e32 v39, v57
	s_waitcnt lgkmcnt(0)
	s_add_i32 s2, s2, 63
	s_addk_i32 s3, 0x7f
	s_ashr_i32 s5, s2, 31
	s_ashr_i32 s6, s3, 31
	s_lshr_b32 s5, s5, 26
	s_lshr_b32 s6, s6, 25
	s_add_i32 s5, s2, s5
	s_add_i32 s3, s3, s6
	s_ashr_i32 s6, s5, 6
	s_ashr_i32 s2, s3, 7
	v_lshrrev_b32_e32 v160, 6, v0
	s_mul_i32 s3, s2, s6
	v_lshlrev_b32_e32 v86, 3, v0
	s_abs_i32 s3, s3
	v_mov_b32_e32 v60, v57
	v_cvt_f32_u32_e32 v1, s3
	s_sub_i32 s8, 0, s3
	v_and_b32_e32 v154, 24, v86
	v_mov_b32_e32 v64, v57
	v_mov_b32_e32 v62, v57
	v_rcp_iflag_f32_e32 v1, v1
	v_mov_b32_e32 v59, v57
	v_dual_mov_b32 v50, v57 :: v_dual_lshlrev_b32 v97, 1, v154
	v_mov_b32_e32 v52, v57
	v_mov_b32_e32 v54, v57
	;; [unrolled: 1-line block ×3, first 2 shown]
	s_delay_alu instid0(VALU_DEP_4) | instskip(SKIP_2) | instid1(TRANS32_DEP_1)
	v_or_b32_e32 v99, 4, v97
	v_or_b32_e32 v100, 6, v97
	;; [unrolled: 1-line block ×3, first 2 shown]
	v_mul_f32_e32 v1, 0x4f7ffffe, v1
	v_or_b32_e32 v101, 8, v97
	v_or_b32_e32 v103, 12, v97
	;; [unrolled: 1-line block ×4, first 2 shown]
	v_cvt_u32_f32_e32 v1, v1
	v_mov_b32_e32 v61, v57
	v_mov_b32_e32 v44, v57
	;; [unrolled: 1-line block ×4, first 2 shown]
	v_readfirstlane_b32 s7, v1
	v_mov_b32_e32 v49, v57
	v_mov_b32_e32 v42, v57
	v_mov_b32_e32 v53, v57
	v_mov_b32_e32 v55, v57
	s_mul_i32 s8, s8, s7
	v_mov_b32_e32 v46, v57
	s_mul_hi_u32 s8, s7, s8
	v_mov_b32_e32 v48, v57
	s_add_i32 s7, s7, s8
	s_ashr_i32 s8, s15, 31
	s_mul_hi_u32 s7, s9, s7
	v_mov_b32_e32 v41, v57
	s_mul_i32 s7, s7, s3
	v_lshlrev_b32_e32 v93, 1, v87
	s_sub_i32 s7, s9, s7
	v_mov_b32_e32 v34, v57
	s_sub_i32 s9, s7, s3
	s_cmp_ge_u32 s7, s3
	v_mov_b32_e32 v36, v57
	s_cselect_b32 s7, s9, s7
	v_mov_b32_e32 v38, v57
	s_sub_i32 s9, s7, s3
	s_cmp_ge_u32 s7, s3
	v_mov_b32_e32 v43, v57
	s_cselect_b32 s3, s9, s7
	s_abs_i32 s7, s2
	s_xor_b32 s3, s3, s8
	v_cvt_f32_u32_e32 v1, s7
	s_sub_i32 s10, 0, s7
	s_sub_i32 s3, s3, s8
	v_mov_b32_e32 v40, v57
	v_mov_b32_e32 v45, v57
	v_rcp_iflag_f32_e32 v1, v1
	v_mov_b32_e32 v47, v57
	s_waitcnt_depctr 0xfff
	v_mul_f32_e32 v1, 0x4f7ffffe, v1
	s_delay_alu instid0(VALU_DEP_1) | instskip(NEXT) | instid1(VALU_DEP_1)
	v_cvt_u32_f32_e32 v1, v1
	v_readfirstlane_b32 s9, v1
	s_delay_alu instid0(VALU_DEP_1) | instskip(NEXT) | instid1(SALU_CYCLE_1)
	s_mul_i32 s10, s10, s9
	s_mul_hi_u32 s8, s9, s10
	s_abs_i32 s10, s3
	s_add_i32 s9, s9, s8
	s_delay_alu instid0(SALU_CYCLE_1)
	s_mul_hi_u32 s8, s10, s9
	s_xor_b32 s9, s3, s2
	s_mul_i32 s11, s8, s7
	s_ashr_i32 s9, s9, 31
	s_sub_i32 s10, s10, s11
	s_add_i32 s11, s8, 1
	s_sub_i32 s12, s10, s7
	s_cmp_ge_u32 s10, s7
	s_cselect_b32 s8, s11, s8
	s_cselect_b32 s10, s12, s10
	s_add_i32 s11, s8, 1
	s_cmp_ge_u32 s10, s7
	s_cselect_b32 s7, s11, s8
	s_abs_i32 s10, s4
	s_abs_i32 s12, s6
	v_cvt_f32_u32_e32 v1, s10
	s_sub_i32 s11, 0, s10
	s_xor_b32 s7, s7, s9
	s_ashr_i32 s5, s5, 31
	s_delay_alu instid0(VALU_DEP_1) | instskip(SKIP_2) | instid1(VALU_DEP_1)
	v_rcp_iflag_f32_e32 v1, v1
	s_waitcnt_depctr 0xfff
	v_mul_f32_e32 v1, 0x4f7ffffe, v1
	v_cvt_u32_f32_e32 v1, v1
	s_delay_alu instid0(VALU_DEP_1) | instskip(NEXT) | instid1(VALU_DEP_1)
	v_readfirstlane_b32 s8, v1
	s_mul_i32 s11, s11, s8
	s_delay_alu instid0(SALU_CYCLE_1) | instskip(NEXT) | instid1(SALU_CYCLE_1)
	s_mul_hi_u32 s11, s8, s11
	s_add_i32 s11, s8, s11
	s_delay_alu instid0(SALU_CYCLE_1) | instskip(NEXT) | instid1(SALU_CYCLE_1)
	s_mul_hi_u32 s8, s12, s11
	s_mul_i32 s8, s8, s10
	s_delay_alu instid0(SALU_CYCLE_1) | instskip(SKIP_4) | instid1(SALU_CYCLE_1)
	s_sub_i32 s12, s12, s8
	s_sub_i32 s8, s7, s9
	;; [unrolled: 1-line block ×3, first 2 shown]
	s_cmp_ge_u32 s12, s10
	s_cselect_b32 s7, s7, s12
	s_sub_i32 s9, s7, s10
	s_cmp_ge_u32 s7, s10
	s_cselect_b32 s7, s9, s7
	s_delay_alu instid0(SALU_CYCLE_1) | instskip(NEXT) | instid1(SALU_CYCLE_1)
	s_xor_b32 s7, s7, s5
	s_sub_i32 s5, s7, s5
	s_delay_alu instid0(SALU_CYCLE_1) | instskip(NEXT) | instid1(SALU_CYCLE_1)
	s_sub_i32 s6, s6, s5
	s_cmp_lt_i32 s8, s6
	s_mul_i32 s6, s8, s2
	s_cselect_b32 s9, s4, s5
	s_abs_i32 s4, s8
	s_sub_i32 s3, s3, s6
	s_mul_hi_u32 s5, s4, s11
	s_delay_alu instid0(SALU_CYCLE_1) | instskip(NEXT) | instid1(SALU_CYCLE_1)
	s_mul_i32 s5, s5, s10
	s_sub_i32 s4, s4, s5
	s_ashr_i32 s5, s8, 31
	s_sub_i32 s6, s4, s10
	s_cmp_ge_u32 s4, s10
	s_cselect_b32 s4, s6, s4
	s_delay_alu instid0(SALU_CYCLE_1)
	s_sub_i32 s6, s4, s10
	s_cmp_ge_u32 s4, s10
	s_cselect_b32 s4, s6, s4
	s_abs_i32 s6, s9
	s_xor_b32 s4, s4, s5
	v_cvt_f32_u32_e32 v1, s6
	s_sub_i32 s11, s4, s5
	s_sub_i32 s4, 0, s6
	s_mul_i32 s2, s11, s2
	s_delay_alu instid0(VALU_DEP_1) | instskip(SKIP_4) | instid1(VALU_DEP_1)
	v_rcp_iflag_f32_e32 v1, v1
	s_add_i32 s12, s2, s3
	s_load_b32 s3, s[0:1], 0x20
	s_waitcnt_depctr 0xfff
	v_mul_f32_e32 v1, 0x4f7ffffe, v1
	v_cvt_u32_f32_e32 v1, v1
	s_delay_alu instid0(VALU_DEP_1) | instskip(NEXT) | instid1(VALU_DEP_1)
	v_readfirstlane_b32 s7, v1
	s_mul_i32 s4, s4, s7
	s_delay_alu instid0(SALU_CYCLE_1)
	s_mul_hi_u32 s2, s7, s4
	s_abs_i32 s4, s12
	s_add_i32 s7, s7, s2
	s_xor_b32 s2, s12, s9
	s_mul_hi_u32 s5, s4, s7
	s_ashr_i32 s13, s2, 31
	s_mul_i32 s7, s5, s6
	s_clause 0x1
	s_load_b32 s10, s[0:1], 0x58
	s_load_b32 s2, s[0:1], 0x68
	s_sub_i32 s4, s4, s7
	s_add_i32 s7, s5, 1
	s_sub_i32 s14, s4, s6
	s_cmp_ge_u32 s4, s6
	s_clause 0x1
	s_load_b32 s21, s[0:1], 0x74
	s_load_b32 s27, s[0:1], 0x80
	s_cselect_b32 s15, s7, s5
	s_cselect_b32 s4, s14, s4
	s_add_i32 s14, s15, 1
	s_cmp_ge_u32 s4, s6
	s_load_b128 s[4:7], s[0:1], 0x0
	s_cselect_b32 s14, s14, s15
	s_delay_alu instid0(SALU_CYCLE_1) | instskip(NEXT) | instid1(SALU_CYCLE_1)
	s_xor_b32 s14, s14, s13
	s_sub_i32 s13, s14, s13
	s_clause 0x1
	s_load_b32 s14, s[0:1], 0xa0
	s_load_b64 s[24:25], s[0:1], 0x10
	s_lshl_b32 s26, s13, 7
	s_mul_i32 s13, s13, s9
	v_add_nc_u32_e32 v124, s26, v87
	s_clause 0x3
	s_load_b32 s34, s[0:1], 0xb0
	s_load_b32 s33, s[0:1], 0xbc
	;; [unrolled: 1-line block ×3, first 2 shown]
	s_load_b64 s[22:23], s[0:1], 0xf0
	s_waitcnt lgkmcnt(0)
	s_sub_i32 s23, s8, s11
	s_sub_i32 s8, s12, s13
	s_lshl_b32 s30, s10, 1
	v_mul_lo_u32 v123, v124, s2
	s_add_i32 s23, s23, s8
	v_cmp_gt_i32_e64 s19, s27, v97
	v_add_nc_u32_e32 v126, 1, v124
	v_add_nc_u32_e32 v128, 2, v124
	v_cmp_gt_i32_e32 vcc_lo, s21, v124
	s_mov_b32 s36, s6
	s_lshl_b32 s6, s23, 6
	v_add_nc_u32_e32 v1, v123, v97
	v_add_nc_u32_e32 v125, s6, v88
	s_mov_b32 s37, s7
	s_lshl_b32 s38, s14, 1
	s_mov_b32 s28, s4
	v_lshlrev_b32_e32 v2, 1, v1
	v_mul_lo_u32 v127, v125, s3
	v_add_nc_u32_e32 v3, s2, v1
	v_add_nc_u32_e32 v1, 14, v1
	s_mov_b32 s29, s5
	buffer_load_b128 v[65:68], v2, s[36:39], 0 offen
	s_clause 0x2
	s_load_b32 s42, s[0:1], 0x2c
	s_load_b32 s40, s[0:1], 0x38
	;; [unrolled: 1-line block ×3, first 2 shown]
	buffer_load_b96 v[83:85], v2, s[36:39], 0 offen offset:16
	v_lshlrev_b32_e32 v2, 1, v3
	v_add_nc_u32_e32 v4, v127, v97
	v_lshlrev_b32_e32 v5, 1, v1
	v_add_lshl_u32 v1, v1, s2, 1
	v_add_nc_u32_e32 v3, s2, v3
	buffer_load_b32 v139, v2, s[36:39], 0 offen
	v_add_nc_u32_e32 v124, 3, v124
	s_clause 0x1
	buffer_load_b32 v157, v5, s[36:39], 0 offen
	buffer_load_b32 v159, v1, s[36:39], 0 offen
	v_lshlrev_b32_e32 v2, 1, v4
	v_add_lshl_u32 v5, v4, s3, 1
	s_clause 0x2
	buffer_load_b128 v[73:76], v2, s[28:31], 0 offen
	buffer_load_b32 v134, v5, s[28:31], 0 offen
	buffer_load_b96 v[80:82], v2, s[28:31], 0 offen offset:16
	v_lshlrev_b32_e32 v2, 1, v3
	v_add_lshl_u32 v5, v3, s2, 1
	v_subrev_nc_u32_e32 v6, 20, v1
	s_clause 0x2
	buffer_load_b128 v[69:72], v2, s[36:39], 0 offen
	buffer_load_b32 v130, v5, s[36:39], 0 offen
	buffer_load_b32 v129, v6, s[36:39], 0 offen
	v_add_nc_u32_e32 v4, 14, v4
	v_add_nc_u32_e32 v3, 14, v3
	buffer_load_b96 v[77:79], v2, s[36:39], 0 offen offset:16
	v_add_nc_u32_e32 v2, -8, v1
	v_subrev_nc_u32_e32 v5, 24, v1
	v_add_nc_u32_e32 v6, -16, v1
	v_add_nc_u32_e32 v7, -4, v1
	;; [unrolled: 1-line block ×3, first 2 shown]
	s_clause 0x2
	buffer_load_b32 v135, v2, s[36:39], 0 offen
	buffer_load_b32 v131, v5, s[36:39], 0 offen
	;; [unrolled: 1-line block ×3, first 2 shown]
	v_add_lshl_u32 v2, v4, s3, 1
	s_clause 0x1
	buffer_load_b32 v136, v1, s[36:39], 0 offen
	buffer_load_b32 v161, v7, s[36:39], 0 offen
	v_lshlrev_b32_e32 v1, 1, v3
	v_add_lshl_u32 v3, v3, s2, 1
	v_add_nc_u32_e32 v5, -4, v2
	v_lshlrev_b32_e32 v4, 1, v4
	buffer_load_b32 v141, v2, s[28:31], 0 offen
	s_clause 0x1
	buffer_load_b32 v148, v1, s[36:39], 0 offen
	buffer_load_b32 v149, v3, s[36:39], 0 offen
	v_subrev_nc_u32_e32 v1, 20, v2
	buffer_load_b32 v142, v5, s[28:31], 0 offen
	v_add_nc_u32_e32 v5, -8, v2
	buffer_load_b32 v140, v4, s[28:31], 0 offen
	s_waitcnt lgkmcnt(0)
	s_ashr_i32 s1, s0, 31
	buffer_load_b32 v146, v1, s[28:31], 0 offen
	v_add_nc_u32_e32 v1, -16, v2
	buffer_load_b32 v143, v5, s[28:31], 0 offen
	v_subrev_nc_u32_e32 v5, 24, v3
	s_lshr_b32 s1, s1, 27
	v_cmp_gt_i32_e64 s10, s27, v99
	buffer_load_b32 v145, v1, s[28:31], 0 offen
	v_add_nc_u32_e32 v4, -12, v2
	v_add_nc_u32_e32 v1, -8, v3
	s_add_i32 s0, s0, s1
	v_cmp_gt_i32_e64 s8, s27, v100
	s_ashr_i32 s0, s0, 5
	buffer_load_b32 v144, v4, s[28:31], 0 offen
	v_subrev_nc_u32_e32 v4, 24, v2
	v_add_nc_u32_e32 v2, -16, v3
	s_add_i32 s0, s0, -1
	v_cmp_gt_i32_e64 s1, s21, v128
	s_max_i32 s41, s0, 1
	buffer_load_b32 v147, v4, s[28:31], 0 offen
	v_subrev_nc_u32_e32 v4, 20, v3
	v_cmp_gt_i32_e64 s0, s21, v126
	v_mul_lo_u32 v126, s2, v126
	v_mul_lo_u32 v163, s2, v124
	;; [unrolled: 1-line block ×3, first 2 shown]
	buffer_load_b32 v152, v4, s[36:39], 0 offen
	v_add_nc_u32_e32 v4, -4, v3
	s_clause 0x2
	buffer_load_b32 v150, v1, s[36:39], 0 offen
	buffer_load_b32 v133, v5, s[36:39], 0 offen
	;; [unrolled: 1-line block ×3, first 2 shown]
	v_dual_mov_b32 v2, v57 :: v_dual_add_nc_u32 v1, -12, v3
	s_clause 0x1
	buffer_load_b32 v138, v4, s[36:39], 0 offen
	buffer_load_b32 v132, v1, s[36:39], 0 offen
	v_cmp_gt_i32_e64 s2, s21, v124
	s_and_b32 s21, s19, vcc_lo
	v_cmp_gt_i32_e64 s5, s27, v98
	v_cmp_gt_i32_e64 s6, s27, v101
	;; [unrolled: 1-line block ×4, first 2 shown]
	v_add_nc_u32_e32 v162, 1, v125
	v_cmp_gt_i32_e64 s18, s27, v104
	v_cmp_gt_i32_e64 s20, s40, v97
	;; [unrolled: 1-line block ×4, first 2 shown]
	v_mul_lo_u32 v164, s3, v162
	v_cmp_gt_i32_e64 s4, s42, v162
	v_cmp_gt_i32_e64 s3, s42, v125
	;; [unrolled: 1-line block ×6, first 2 shown]
	v_lshlrev_b32_e32 v124, 1, v126
	v_lshlrev_b32_e32 v126, 1, v128
	;; [unrolled: 1-line block ×3, first 2 shown]
	v_mov_b32_e32 v6, v57
	v_and_or_b32 v87, v86, 8, v89
	v_lshlrev_b32_e32 v89, 1, v90
	v_lshlrev_b32_e32 v125, 1, v163
	v_dual_mov_b32 v1, v57 :: v_dual_lshlrev_b32 v88, 1, v88
	v_mov_b32_e32 v4, v57
	v_lshlrev_b32_e32 v86, 5, v92
	v_mul_u32_u24_e32 v90, 0x82, v154
	v_mul_u32_u24_e32 v92, 0x102, v154
	v_lshl_or_b32 v153, v87, 2, v91
	v_lshl_or_b32 v91, v158, 2, v89
	v_cmp_gt_i32_e64 s13, s40, v104
	v_mov_b32_e32 v10, v57
	v_add_lshl_u32 v88, v90, v88, 1
	v_add_lshl_u32 v89, v92, v93, 1
	v_add_nc_u32_e32 v155, 0x207c, v91
	v_dual_mov_b32 v3, v57 :: v_dual_add_nc_u32 v90, 0x400, v153
	v_dual_mov_b32 v5, v57 :: v_dual_add_nc_u32 v92, 0xc00, v153
	;; [unrolled: 1-line block ×11, first 2 shown]
	v_mov_b32_e32 v18, v57
	v_dual_mov_b32 v19, v57 :: v_dual_add_nc_u32 v104, 0x2894, v89
	v_dual_mov_b32 v20, v57 :: v_dual_add_nc_u32 v99, 0x207c, v89
	;; [unrolled: 1-line block ×14, first 2 shown]
	v_or_b32_e32 v87, 64, v97
	v_add_nc_u32_e32 v97, 0x514, v88
	v_add_nc_u32_e32 v113, 0x1800, v155
	v_add_nc_u32_e32 v115, 0x2000, v155
	v_add_nc_u32_e32 v117, 0x2800, v155
	v_add_nc_u32_e32 v118, 0x2c00, v155
	v_add_nc_u32_e32 v119, 0x3000, v155
	v_add_nc_u32_e32 v120, 0x3400, v155
	v_add_nc_u32_e32 v121, 0x3800, v155
	v_add_nc_u32_e32 v122, 0x3c00, v155
	v_lshlrev_b32_e32 v123, 1, v123
	v_lshlrev_b32_e32 v127, 1, v127
	s_waitcnt vmcnt(32)
	v_cndmask_b32_e64 v171, 0, v65, s21
	s_and_b32 s21, s10, vcc_lo
	s_delay_alu instid0(SALU_CYCLE_1) | instskip(SKIP_1) | instid1(SALU_CYCLE_1)
	v_cndmask_b32_e64 v172, 0, v67, s21
	s_and_b32 s21, s8, vcc_lo
	v_cndmask_b32_e64 v166, 0, v68, s21
	s_and_b32 s21, s5, vcc_lo
	s_delay_alu instid0(SALU_CYCLE_1) | instskip(SKIP_4) | instid1(SALU_CYCLE_1)
	v_cndmask_b32_e64 v65, 0, v66, s21
	s_and_b32 s21, s6, vcc_lo
	s_waitcnt vmcnt(31)
	v_cndmask_b32_e64 v173, 0, v83, s21
	s_and_b32 s21, s7, vcc_lo
	v_cndmask_b32_e64 v85, 0, v85, s21
	s_and_b32 s21, s14, vcc_lo
	s_delay_alu instid0(SALU_CYCLE_1)
	v_cndmask_b32_e64 v162, 0, v84, s21
	s_and_b32 s21, s19, s0
	s_waitcnt vmcnt(30)
	v_cndmask_b32_e64 v139, 0, v139, s21
	s_and_b32 s21, s18, vcc_lo
	s_waitcnt vmcnt(29)
	v_cndmask_b32_e64 v83, 0, v157, s21
	s_and_b32 s21, s18, s0
	s_waitcnt vmcnt(28)
	v_cndmask_b32_e64 v84, 0, v159, s21
	s_and_b32 s21, s20, s3
	s_and_b32 s20, s20, s4
	s_waitcnt vmcnt(27)
	v_cndmask_b32_e64 v168, 0, v73, s21
	s_and_b32 s21, s15, s3
	s_waitcnt vmcnt(26)
	v_cndmask_b32_e64 v169, 0, v134, s20
	s_and_b32 s20, s17, s3
	v_cndmask_b32_e64 v73, 0, v75, s21
	s_waitcnt vmcnt(25)
	v_cndmask_b32_e64 v75, 0, v80, s20
	s_and_b32 s20, s16, s3
	s_and_b32 s15, s15, s4
	v_cndmask_b32_e64 v80, 0, v82, s20
	s_and_b32 s20, s9, s3
	s_and_b32 s9, s9, s4
	;; [unrolled: 3-line block ×3, first 2 shown]
	v_cndmask_b32_e64 v134, 0, v76, s20
	s_and_b32 s20, s12, s3
	s_delay_alu instid0(SALU_CYCLE_1)
	v_cndmask_b32_e64 v157, 0, v81, s20
	s_and_b32 s20, s19, s1
	s_and_b32 s19, s19, s2
	s_waitcnt vmcnt(24)
	v_cndmask_b32_e64 v159, 0, v69, s20
	s_waitcnt vmcnt(23)
	v_cndmask_b32_e64 v130, 0, v130, s19
	s_and_b32 s19, s10, s0
	s_waitcnt vmcnt(10)
	v_cndmask_b32_e64 v74, 0, v146, s15
	v_cndmask_b32_e64 v129, 0, v129, s19
	s_and_b32 s19, s5, s1
	s_and_b32 s15, s16, s4
	v_cndmask_b32_e64 v67, 0, v70, s19
	s_and_b32 s19, s10, s1
	v_cndmask_b32_e64 v81, 0, v142, s15
	v_cndmask_b32_e64 v174, 0, v71, s19
	s_and_b32 s19, s8, s1
	s_waitcnt vmcnt(7)
	v_cndmask_b32_e64 v76, 0, v144, s17
	v_cndmask_b32_e64 v69, 0, v72, s19
	s_and_b32 s19, s6, s1
	s_delay_alu instid0(SALU_CYCLE_1) | instskip(SKIP_1) | instid1(SALU_CYCLE_1)
	v_cndmask_b32_e64 v77, 0, v77, s19
	s_and_b32 s19, s14, s1
	v_cndmask_b32_e64 v164, 0, v78, s19
	s_and_b32 s19, s7, s1
	s_delay_alu instid0(SALU_CYCLE_1) | instskip(SKIP_1) | instid1(SALU_CYCLE_1)
	v_cndmask_b32_e64 v78, 0, v79, s19
	s_and_b32 s19, s14, s0
	v_cndmask_b32_e64 v163, 0, v135, s19
	s_and_b32 s19, s8, s0
	s_and_b32 s8, s8, s2
	v_cndmask_b32_e64 v167, 0, v137, s19
	s_and_b32 s19, s5, s0
	;; [unrolled: 3-line block ×3, first 2 shown]
	s_waitcnt vmcnt(3)
	v_cndmask_b32_e64 v68, 0, v133, s5
	v_cndmask_b32_e64 v79, 0, v161, s19
	s_and_b32 s19, s6, s0
	s_and_b32 s5, s7, s2
	v_cndmask_b32_e64 v131, 0, v136, s19
	v_cndmask_b32_e64 v136, 0, v147, s9
	s_and_b32 s9, s11, s4
	s_and_b32 s19, s13, s3
	v_cndmask_b32_e64 v137, 0, v145, s9
	s_and_b32 s9, s12, s4
	v_cndmask_b32_e64 v135, 0, v140, s19
	v_cndmask_b32_e64 v140, 0, v143, s9
	s_and_b32 s9, s13, s4
	s_and_b32 s19, s18, s1
	v_cndmask_b32_e64 v141, 0, v141, s9
	s_and_b32 s9, s10, s2
	s_and_b32 s18, s18, s2
	v_cndmask_b32_e64 v142, 0, v152, s9
	s_and_b32 s9, s14, s2
	s_waitcnt vmcnt(1)
	v_cndmask_b32_e64 v133, 0, v138, s5
	s_and_b32 s5, s6, s2
	v_cndmask_b32_e64 v71, 0, v148, s19
	v_cndmask_b32_e64 v72, 0, v149, s18
	;; [unrolled: 1-line block ×4, first 2 shown]
	s_waitcnt vmcnt(0)
	v_cndmask_b32_e64 v132, 0, v132, s5
	ds_store_2addr_b64 v88, v[168:169], v[73:74] offset1:65
	ds_store_2addr_b64 v88, v[75:76], v[80:81] offset0:130 offset1:195
	ds_store_2addr_b32 v88, v82, v136 offset0:65 offset1:66
	ds_store_2addr_b32 v88, v134, v137 offset0:195 offset1:196
	ds_store_2addr_b32 v97, v157, v140 offset1:1
	ds_store_2addr_b32 v98, v135, v141 offset1:1
	;; [unrolled: 1-line block ×6, first 2 shown]
	ds_store_2addr_b64 v102, v[166:167], v[69:70] offset1:1
	ds_store_2addr_b32 v103, v173, v131 offset1:1
	ds_store_b128 v89, v[65:68] offset:8832
	ds_store_b128 v89, v[162:165] offset:10896
	ds_store_2addr_b32 v104, v77, v132 offset1:1
	ds_store_2addr_b32 v105, v85, v79 offset1:1
	;; [unrolled: 1-line block ×3, first 2 shown]
	ds_store_2addr_b64 v107, v[83:84], v[71:72] offset1:1
.LBB1_1:                                ; =>This Inner Loop Header: Depth=1
	v_add_nc_u32_e32 v65, v86, v127
	v_add_nc_u32_e32 v69, v86, v128
	;; [unrolled: 1-line block ×5, first 2 shown]
	s_clause 0x3
	buffer_load_b128 v[77:80], v65, s[28:31], 0 offen offset:128
	buffer_load_b128 v[73:76], v65, s[28:31], 0 offen offset:144
	;; [unrolled: 1-line block ×4, first 2 shown]
	s_waitcnt vmcnt(0) lgkmcnt(0)
	s_barrier
	ds_load_2addr_b32 v[81:82], v155 offset1:32
	ds_load_2addr_b32 v[129:130], v155 offset0:129 offset1:161
	v_cmp_gt_i32_e64 s5, s40, v87
	v_cmp_gt_i32_e64 s7, s40, v157
	v_add_nc_u32_e32 v123, 0x80, v123
	v_add_nc_u32_e32 v125, 0x80, v125
	;; [unrolled: 1-line block ×3, first 2 shown]
	s_and_b32 s6, s3, s5
	s_and_b32 s5, s4, s5
	;; [unrolled: 1-line block ×4, first 2 shown]
	s_add_i32 s41, s41, -1
	s_waitcnt lgkmcnt(1)
	v_dual_mov_b32 v137, v81 :: v_dual_add_nc_u32 v128, 0x80, v128
	s_waitcnt lgkmcnt(0)
	v_dual_mov_b32 v138, v129 :: v_dual_mov_b32 v129, v82
	ds_load_2addr_b32 v[131:132], v108 offset0:131 offset1:163
	ds_load_2addr_b32 v[81:82], v108 offset0:2 offset1:34
	s_waitcnt lgkmcnt(0)
	v_dual_mov_b32 v140, v131 :: v_dual_mov_b32 v139, v81
	v_mov_b32_e32 v131, v82
	ds_load_2addr_b32 v[133:134], v109 offset0:133 offset1:165
	ds_load_2addr_b32 v[81:82], v109 offset0:4 offset1:36
	s_waitcnt lgkmcnt(1)
	v_mov_b32_e32 v142, v133
	s_waitcnt lgkmcnt(0)
	v_mov_b32_e32 v141, v81
	v_mov_b32_e32 v133, v82
	ds_load_2addr_b32 v[135:136], v110 offset0:135 offset1:167
	ds_load_2addr_b32 v[81:82], v110 offset0:6 offset1:38
	s_waitcnt lgkmcnt(0)
	v_dual_mov_b32 v144, v135 :: v_dual_mov_b32 v143, v81
	v_mov_b32_e32 v135, v82
	ds_load_2addr_b32 v[81:82], v155 offset0:64 offset1:96
	ds_load_2addr_b32 v[145:146], v155 offset0:193 offset1:225
	s_waitcnt lgkmcnt(1)
	v_mov_b32_e32 v161, v81
	s_waitcnt lgkmcnt(0)
	v_dual_mov_b32 v162, v145 :: v_dual_mov_b32 v145, v82
	ds_load_2addr_b32 v[147:148], v108 offset0:195 offset1:227
	ds_load_2addr_b32 v[81:82], v108 offset0:66 offset1:98
	s_waitcnt lgkmcnt(0)
	v_dual_mov_b32 v164, v147 :: v_dual_mov_b32 v163, v81
	v_mov_b32_e32 v147, v82
	ds_load_2addr_b32 v[149:150], v109 offset0:197 offset1:229
	ds_load_2addr_b32 v[81:82], v109 offset0:68 offset1:100
	s_waitcnt lgkmcnt(1)
	v_mov_b32_e32 v166, v149
	s_waitcnt lgkmcnt(0)
	v_mov_b32_e32 v165, v81
	v_mov_b32_e32 v149, v82
	ds_load_2addr_b32 v[151:152], v110 offset0:199 offset1:231
	ds_load_2addr_b32 v[81:82], v110 offset0:70 offset1:102
	s_waitcnt lgkmcnt(0)
	v_dual_mov_b32 v168, v151 :: v_dual_mov_b32 v167, v81
	v_mov_b32_e32 v151, v82
	ds_load_2addr_b32 v[169:170], v153 offset0:65 offset1:97
	ds_load_2addr_b32 v[171:172], v153 offset0:195 offset1:227
	;; [unrolled: 1-line block ×4, first 2 shown]
	ds_load_2addr_b32 v[81:82], v153 offset1:32
	ds_load_2addr_b32 v[83:84], v153 offset0:130 offset1:162
	ds_load_2addr_b32 v[184:185], v90 offset0:4 offset1:36
	;; [unrolled: 1-line block ×3, first 2 shown]
	s_waitcnt lgkmcnt(7)
	v_mov_b32_e32 v178, v169
	s_waitcnt lgkmcnt(6)
	v_mov_b32_e32 v180, v171
	;; [unrolled: 2-line block ×6, first 2 shown]
	s_waitcnt lgkmcnt(0)
	v_dual_mov_b32 v183, v186 :: v_dual_mov_b32 v184, v175
	v_mov_b32_e32 v169, v82
	v_mov_b32_e32 v171, v84
	;; [unrolled: 1-line block ×4, first 2 shown]
	v_wmma_f32_16x16x16_bf16 v[49:56], v[177:184], v[129:136], v[49:56]
	v_wmma_f32_16x16x16_bf16 v[57:64], v[177:184], v[137:144], v[57:64]
	s_delay_alu instid0(VALU_DEP_3)
	v_wmma_f32_16x16x16_bf16 v[9:16], v[169:176], v[129:136], v[9:16]
	ds_load_2addr_b32 v[81:82], v111 offset0:8 offset1:40
	ds_load_2addr_b32 v[129:130], v111 offset0:137 offset1:169
	v_wmma_f32_16x16x16_bf16 v[1:8], v[169:176], v[137:144], v[1:8]
	s_waitcnt lgkmcnt(1)
	v_mov_b32_e32 v137, v81
	s_waitcnt lgkmcnt(0)
	v_dual_mov_b32 v138, v129 :: v_dual_mov_b32 v129, v82
	ds_load_2addr_b32 v[131:132], v112 offset0:139 offset1:171
	ds_load_2addr_b32 v[81:82], v112 offset0:10 offset1:42
	s_waitcnt lgkmcnt(0)
	v_dual_mov_b32 v140, v131 :: v_dual_mov_b32 v139, v81
	v_mov_b32_e32 v131, v82
	ds_load_2addr_b32 v[133:134], v113 offset0:141 offset1:173
	ds_load_2addr_b32 v[81:82], v113 offset0:12 offset1:44
	s_waitcnt lgkmcnt(1)
	v_mov_b32_e32 v142, v133
	s_waitcnt lgkmcnt(0)
	v_mov_b32_e32 v141, v81
	v_mov_b32_e32 v133, v82
	ds_load_2addr_b32 v[135:136], v114 offset0:143 offset1:175
	ds_load_2addr_b32 v[81:82], v114 offset0:14 offset1:46
	v_wmma_f32_16x16x16_bf16 v[33:40], v[177:184], v[145:152], v[33:40]
	v_wmma_f32_16x16x16_bf16 v[25:32], v[169:176], v[145:152], v[25:32]
	s_waitcnt lgkmcnt(0)
	v_dual_mov_b32 v144, v135 :: v_dual_mov_b32 v143, v81
	v_mov_b32_e32 v135, v82
	ds_load_2addr_b32 v[81:82], v111 offset0:72 offset1:104
	ds_load_2addr_b32 v[145:146], v111 offset0:201 offset1:233
	v_wmma_f32_16x16x16_bf16 v[41:48], v[177:184], v[161:168], v[41:48]
	v_wmma_f32_16x16x16_bf16 v[17:24], v[169:176], v[161:168], v[17:24]
	s_waitcnt lgkmcnt(1)
	v_mov_b32_e32 v161, v81
	s_waitcnt lgkmcnt(0)
	v_dual_mov_b32 v162, v145 :: v_dual_mov_b32 v145, v82
	ds_load_2addr_b32 v[147:148], v112 offset0:203 offset1:235
	ds_load_2addr_b32 v[81:82], v112 offset0:74 offset1:106
	s_waitcnt lgkmcnt(0)
	v_dual_mov_b32 v164, v147 :: v_dual_mov_b32 v163, v81
	v_mov_b32_e32 v147, v82
	ds_load_2addr_b32 v[149:150], v113 offset0:205 offset1:237
	ds_load_2addr_b32 v[81:82], v113 offset0:76 offset1:108
	s_waitcnt lgkmcnt(1)
	v_mov_b32_e32 v166, v149
	s_waitcnt lgkmcnt(0)
	v_mov_b32_e32 v165, v81
	v_mov_b32_e32 v149, v82
	ds_load_2addr_b32 v[151:152], v114 offset0:207 offset1:239
	ds_load_2addr_b32 v[81:82], v114 offset0:78 offset1:110
	s_waitcnt lgkmcnt(0)
	v_dual_mov_b32 v168, v151 :: v_dual_mov_b32 v167, v81
	v_mov_b32_e32 v151, v82
	ds_load_2addr_b32 v[169:170], v91 offset0:73 offset1:105
	ds_load_2addr_b32 v[171:172], v91 offset0:203 offset1:235
	;; [unrolled: 1-line block ×8, first 2 shown]
	s_waitcnt lgkmcnt(7)
	v_mov_b32_e32 v178, v169
	s_waitcnt lgkmcnt(6)
	v_mov_b32_e32 v180, v171
	;; [unrolled: 2-line block ×6, first 2 shown]
	s_waitcnt lgkmcnt(0)
	v_dual_mov_b32 v183, v186 :: v_dual_mov_b32 v184, v175
	v_mov_b32_e32 v169, v82
	v_mov_b32_e32 v171, v84
	;; [unrolled: 1-line block ×4, first 2 shown]
	v_wmma_f32_16x16x16_bf16 v[49:56], v[177:184], v[129:136], v[49:56]
	v_wmma_f32_16x16x16_bf16 v[57:64], v[177:184], v[137:144], v[57:64]
	;; [unrolled: 1-line block ×5, first 2 shown]
	ds_load_2addr_b32 v[81:82], v115 offset0:16 offset1:48
	ds_load_2addr_b32 v[129:130], v115 offset0:145 offset1:177
	v_wmma_f32_16x16x16_bf16 v[1:8], v[169:176], v[137:144], v[1:8]
	v_wmma_f32_16x16x16_bf16 v[25:32], v[169:176], v[145:152], v[25:32]
	;; [unrolled: 1-line block ×3, first 2 shown]
	s_waitcnt lgkmcnt(1)
	v_mov_b32_e32 v137, v81
	s_waitcnt lgkmcnt(0)
	v_dual_mov_b32 v138, v129 :: v_dual_mov_b32 v129, v82
	ds_load_2addr_b32 v[131:132], v116 offset0:147 offset1:179
	ds_load_2addr_b32 v[81:82], v116 offset0:18 offset1:50
	s_waitcnt lgkmcnt(0)
	v_dual_mov_b32 v140, v131 :: v_dual_mov_b32 v139, v81
	v_mov_b32_e32 v131, v82
	ds_load_2addr_b32 v[133:134], v117 offset0:149 offset1:181
	ds_load_2addr_b32 v[81:82], v117 offset0:20 offset1:52
	s_waitcnt lgkmcnt(1)
	v_mov_b32_e32 v142, v133
	s_waitcnt lgkmcnt(0)
	v_mov_b32_e32 v141, v81
	v_mov_b32_e32 v133, v82
	ds_load_2addr_b32 v[135:136], v118 offset0:151 offset1:183
	ds_load_2addr_b32 v[81:82], v118 offset0:22 offset1:54
	s_waitcnt lgkmcnt(0)
	v_dual_mov_b32 v144, v135 :: v_dual_mov_b32 v143, v81
	v_mov_b32_e32 v135, v82
	ds_load_2addr_b32 v[81:82], v115 offset0:80 offset1:112
	ds_load_2addr_b32 v[145:146], v115 offset0:209 offset1:241
	s_waitcnt lgkmcnt(1)
	v_mov_b32_e32 v161, v81
	s_waitcnt lgkmcnt(0)
	v_dual_mov_b32 v162, v145 :: v_dual_mov_b32 v145, v82
	ds_load_2addr_b32 v[147:148], v116 offset0:211 offset1:243
	ds_load_2addr_b32 v[81:82], v116 offset0:82 offset1:114
	s_waitcnt lgkmcnt(0)
	v_dual_mov_b32 v164, v147 :: v_dual_mov_b32 v163, v81
	v_mov_b32_e32 v147, v82
	ds_load_2addr_b32 v[149:150], v117 offset0:213 offset1:245
	ds_load_2addr_b32 v[81:82], v117 offset0:84 offset1:116
	s_waitcnt lgkmcnt(1)
	v_mov_b32_e32 v166, v149
	s_waitcnt lgkmcnt(0)
	v_mov_b32_e32 v165, v81
	v_mov_b32_e32 v149, v82
	ds_load_2addr_b32 v[151:152], v118 offset0:215 offset1:247
	ds_load_2addr_b32 v[81:82], v118 offset0:86 offset1:118
	s_waitcnt lgkmcnt(0)
	v_dual_mov_b32 v168, v151 :: v_dual_mov_b32 v167, v81
	v_mov_b32_e32 v151, v82
	ds_load_2addr_b32 v[169:170], v93 offset0:81 offset1:113
	ds_load_2addr_b32 v[171:172], v93 offset0:211 offset1:243
	;; [unrolled: 1-line block ×8, first 2 shown]
	s_waitcnt lgkmcnt(7)
	v_mov_b32_e32 v178, v169
	s_waitcnt lgkmcnt(6)
	v_mov_b32_e32 v180, v171
	;; [unrolled: 2-line block ×6, first 2 shown]
	s_waitcnt lgkmcnt(0)
	v_dual_mov_b32 v183, v186 :: v_dual_mov_b32 v184, v175
	v_mov_b32_e32 v169, v82
	v_mov_b32_e32 v171, v84
	;; [unrolled: 1-line block ×4, first 2 shown]
	v_wmma_f32_16x16x16_bf16 v[49:56], v[177:184], v[129:136], v[49:56]
	v_wmma_f32_16x16x16_bf16 v[57:64], v[177:184], v[137:144], v[57:64]
	v_wmma_f32_16x16x16_bf16 v[33:40], v[177:184], v[145:152], v[33:40]
	v_wmma_f32_16x16x16_bf16 v[41:48], v[177:184], v[161:168], v[41:48]
	v_wmma_f32_16x16x16_bf16 v[9:16], v[169:176], v[129:136], v[9:16]
	ds_load_2addr_b32 v[81:82], v119 offset0:24 offset1:56
	ds_load_2addr_b32 v[129:130], v119 offset0:153 offset1:185
	v_wmma_f32_16x16x16_bf16 v[1:8], v[169:176], v[137:144], v[1:8]
	v_wmma_f32_16x16x16_bf16 v[25:32], v[169:176], v[145:152], v[25:32]
	;; [unrolled: 1-line block ×3, first 2 shown]
	s_waitcnt lgkmcnt(1)
	v_mov_b32_e32 v137, v81
	s_waitcnt lgkmcnt(0)
	v_dual_mov_b32 v138, v129 :: v_dual_mov_b32 v129, v82
	ds_load_2addr_b32 v[131:132], v120 offset0:155 offset1:187
	ds_load_2addr_b32 v[81:82], v120 offset0:26 offset1:58
	s_waitcnt lgkmcnt(0)
	v_dual_mov_b32 v140, v131 :: v_dual_mov_b32 v139, v81
	v_mov_b32_e32 v131, v82
	ds_load_2addr_b32 v[133:134], v121 offset0:157 offset1:189
	ds_load_2addr_b32 v[81:82], v121 offset0:28 offset1:60
	s_waitcnt lgkmcnt(1)
	v_mov_b32_e32 v142, v133
	s_waitcnt lgkmcnt(0)
	v_mov_b32_e32 v141, v81
	v_mov_b32_e32 v133, v82
	ds_load_2addr_b32 v[135:136], v122 offset0:159 offset1:191
	ds_load_2addr_b32 v[81:82], v122 offset0:30 offset1:62
	s_waitcnt lgkmcnt(0)
	v_dual_mov_b32 v144, v135 :: v_dual_mov_b32 v143, v81
	v_mov_b32_e32 v135, v82
	ds_load_2addr_b32 v[81:82], v119 offset0:88 offset1:120
	ds_load_2addr_b32 v[145:146], v119 offset0:217 offset1:249
	s_waitcnt lgkmcnt(1)
	v_mov_b32_e32 v161, v81
	s_waitcnt lgkmcnt(0)
	v_dual_mov_b32 v162, v145 :: v_dual_mov_b32 v145, v82
	ds_load_2addr_b32 v[147:148], v120 offset0:219 offset1:251
	ds_load_2addr_b32 v[81:82], v120 offset0:90 offset1:122
	s_waitcnt lgkmcnt(0)
	v_dual_mov_b32 v164, v147 :: v_dual_mov_b32 v163, v81
	v_mov_b32_e32 v147, v82
	ds_load_2addr_b32 v[149:150], v121 offset0:221 offset1:253
	ds_load_2addr_b32 v[81:82], v121 offset0:92 offset1:124
	s_waitcnt lgkmcnt(1)
	v_mov_b32_e32 v166, v149
	s_waitcnt lgkmcnt(0)
	v_mov_b32_e32 v165, v81
	v_mov_b32_e32 v149, v82
	ds_load_2addr_b32 v[151:152], v122 offset0:223 offset1:255
	ds_load_2addr_b32 v[81:82], v122 offset0:94 offset1:126
	s_waitcnt lgkmcnt(0)
	v_dual_mov_b32 v168, v151 :: v_dual_mov_b32 v167, v81
	v_mov_b32_e32 v151, v82
	ds_load_2addr_b32 v[169:170], v95 offset0:89 offset1:121
	ds_load_2addr_b32 v[171:172], v95 offset0:219 offset1:251
	;; [unrolled: 1-line block ×8, first 2 shown]
	s_waitcnt lgkmcnt(7)
	v_mov_b32_e32 v178, v169
	s_waitcnt lgkmcnt(6)
	v_mov_b32_e32 v180, v171
	;; [unrolled: 2-line block ×6, first 2 shown]
	s_waitcnt lgkmcnt(0)
	v_dual_mov_b32 v183, v186 :: v_dual_mov_b32 v184, v175
	v_mov_b32_e32 v169, v82
	v_mov_b32_e32 v171, v84
	;; [unrolled: 1-line block ×4, first 2 shown]
	v_wmma_f32_16x16x16_bf16 v[57:64], v[177:184], v[137:144], v[57:64]
	v_wmma_f32_16x16x16_bf16 v[49:56], v[177:184], v[129:136], v[49:56]
	;; [unrolled: 1-line block ×5, first 2 shown]
	v_add_nc_u32_e32 v137, v86, v124
	v_wmma_f32_16x16x16_bf16 v[9:16], v[169:176], v[129:136], v[9:16]
	s_clause 0x1
	buffer_load_b128 v[81:84], v85, s[36:39], 0 offen offset:144
	buffer_load_b128 v[129:132], v137, s[36:39], 0 offen offset:144
	v_wmma_f32_16x16x16_bf16 v[25:32], v[169:176], v[145:152], v[25:32]
	v_add_nc_u32_e32 v145, v86, v126
	v_wmma_f32_16x16x16_bf16 v[17:24], v[169:176], v[161:168], v[17:24]
	s_clause 0x5
	buffer_load_b128 v[133:136], v85, s[36:39], 0 offen offset:128
	buffer_load_b128 v[137:140], v137, s[36:39], 0 offen offset:128
	;; [unrolled: 1-line block ×6, first 2 shown]
	v_cndmask_b32_e64 v168, 0, v65, s5
	v_add_nc_u32_e32 v65, 8, v87
	v_cndmask_b32_e64 v166, 0, v67, s8
	v_add_nc_u32_e32 v67, 12, v87
	v_cndmask_b32_e64 v165, 0, v79, s7
	v_cndmask_b32_e64 v167, 0, v77, s6
	v_cmp_gt_i32_e64 s5, s40, v65
	s_waitcnt lgkmcnt(0)
	v_cmp_gt_i32_e64 s6, s40, v67
	s_waitcnt vmcnt(0)
	s_barrier
	ds_store_2addr_b64 v88, v[167:168], v[165:166] offset1:65
	s_and_b32 s7, s3, s5
	s_and_b32 s5, s4, s5
	;; [unrolled: 1-line block ×3, first 2 shown]
	v_cndmask_b32_e64 v168, 0, v69, s5
	v_add_nc_u32_e32 v69, 6, v87
	v_cndmask_b32_e64 v166, 0, v71, s8
	v_add_nc_u32_e32 v71, 2, v87
	s_and_b32 s6, s3, s6
	v_cndmask_b32_e64 v167, 0, v73, s7
	v_cmp_gt_i32_e64 s5, s40, v69
	v_add_nc_u32_e32 v73, 14, v87
	v_cndmask_b32_e64 v165, 0, v75, s6
	v_cmp_gt_i32_e64 s6, s40, v71
	v_add_nc_u32_e32 v75, 10, v87
	s_and_b32 s7, s3, s5
	s_and_b32 s5, s4, s5
	v_cndmask_b32_e64 v159, 0, v80, s7
	v_cmp_gt_i32_e64 s7, s40, v73
	s_and_b32 s8, s3, s6
	s_and_b32 s6, s4, s6
	v_cndmask_b32_e64 v85, 0, v78, s8
	v_cmp_gt_i32_e64 s8, s40, v75
	;; [unrolled: 4-line block ×3, first 2 shown]
	ds_store_2addr_b64 v88, v[167:168], v[165:166] offset0:130 offset1:195
	v_cndmask_b32_e64 v167, 0, v72, s7
	v_cmp_gt_i32_e64 s7, s27, v73
	s_and_b32 s10, s3, s8
	s_and_b32 s8, s4, s8
	v_cndmask_b32_e64 v169, 0, v68, s5
	v_cmp_gt_i32_e64 s5, s27, v75
	v_cndmask_b32_e64 v165, 0, v74, s10
	v_cndmask_b32_e64 v168, 0, v70, s8
	v_cmp_gt_i32_e64 s8, s27, v65
	s_and_b32 s10, vcc_lo, s6
	s_and_b32 s12, s0, s7
	v_cndmask_b32_e64 v166, 0, v76, s9
	s_and_b32 s9, vcc_lo, s5
	s_and_b32 s11, vcc_lo, s7
	;; [unrolled: 1-line block ×3, first 2 shown]
	s_and_b32 s14, s0, s5
	s_and_b32 s13, s0, s6
	;; [unrolled: 1-line block ×3, first 2 shown]
	v_add_nc_u32_e32 v124, 0x80, v124
	v_add_nc_u32_e32 v126, 0x80, v126
	v_cndmask_b32_e64 v83, 0, v83, s10
	v_cmp_gt_i32_e64 s10, s27, v157
	v_cndmask_b32_e64 v74, 0, v132, s12
	v_cmp_gt_i32_e64 s12, s27, v87
	;; [unrolled: 2-line block ×3, first 2 shown]
	v_cndmask_b32_e64 v81, 0, v81, s16
	v_cndmask_b32_e64 v73, 0, v84, s11
	v_cmp_gt_i32_e64 s11, s27, v69
	s_and_b32 s16, vcc_lo, s10
	v_cndmask_b32_e64 v66, 0, v130, s14
	s_and_b32 s14, vcc_lo, s12
	v_cndmask_b32_e64 v130, 0, v135, s16
	s_and_b32 s16, s1, s5
	s_and_b32 s5, s2, s5
	v_cndmask_b32_e64 v82, 0, v131, s13
	s_and_b32 s13, s0, s12
	v_cndmask_b32_e64 v84, 0, v129, s15
	s_and_b32 s15, vcc_lo, s9
	v_cndmask_b32_e64 v129, 0, v133, s14
	s_and_b32 s14, s1, s6
	s_and_b32 s6, s2, s6
	v_cndmask_b32_e64 v68, 0, v150, s5
	s_and_b32 s5, s1, s12
	s_and_b32 s17, vcc_lo, s11
	v_cndmask_b32_e64 v132, 0, v137, s13
	s_and_b32 s13, s1, s8
	s_and_b32 s8, s2, s8
	;; [unrolled: 1-line block ×4, first 2 shown]
	v_cndmask_b32_e64 v69, 0, v134, s15
	s_and_b32 s15, s1, s7
	s_and_b32 s7, s2, s7
	v_cndmask_b32_e64 v135, 0, v151, s6
	s_and_b32 s6, s1, s10
	v_cndmask_b32_e64 v137, 0, v145, s5
	s_and_b32 s5, s2, s12
	s_and_b32 s19, s0, s10
	v_cndmask_b32_e64 v75, 0, v136, s17
	v_cndmask_b32_e64 v136, 0, v149, s8
	s_and_b32 s8, s1, s9
	v_cndmask_b32_e64 v76, 0, v140, s18
	v_cndmask_b32_e64 v70, 0, v138, s20
	v_cndmask_b32_e64 v78, 0, v152, s7
	s_and_b32 s7, s1, s11
	v_cndmask_b32_e64 v138, 0, v147, s6
	s_and_b32 s6, s2, s10
	v_cndmask_b32_e64 v140, 0, v161, s5
	v_add_nc_u32_e32 v87, 64, v87
	v_cndmask_b32_e64 v131, 0, v139, s19
	v_cndmask_b32_e64 v71, 0, v146, s8
	s_and_b32 s8, s2, s11
	v_cndmask_b32_e64 v79, 0, v148, s7
	s_and_b32 s7, s2, s9
	v_cndmask_b32_e64 v139, 0, v163, s6
	v_cndmask_b32_e64 v80, 0, v164, s8
	s_cmp_lg_u32 s41, 0
	v_cndmask_b32_e64 v67, 0, v142, s16
	v_cndmask_b32_e64 v133, 0, v141, s13
	;; [unrolled: 1-line block ×5, first 2 shown]
	ds_store_2addr_b32 v88, v85, v170 offset0:65 offset1:66
	ds_store_2addr_b32 v88, v159, v169 offset0:195 offset1:196
	ds_store_2addr_b32 v97, v165, v168 offset1:1
	ds_store_2addr_b32 v98, v166, v167 offset1:1
	;; [unrolled: 1-line block ×3, first 2 shown]
	ds_store_2addr_b32 v99, v137, v140 offset0:2 offset1:3
	ds_store_2addr_b32 v100, v130, v131 offset1:1
	ds_store_2addr_b32 v101, v138, v139 offset1:1
	ds_store_2addr_b64 v102, v[75:76], v[79:80] offset1:1
	ds_store_2addr_b32 v103, v81, v84 offset1:1
	ds_store_b128 v89, v[69:72] offset:8832
	ds_store_b128 v89, v[65:68] offset:10896
	ds_store_2addr_b32 v104, v133, v136 offset1:1
	ds_store_2addr_b32 v105, v83, v82 offset1:1
	;; [unrolled: 1-line block ×3, first 2 shown]
	ds_store_2addr_b64 v107, v[73:74], v[77:78] offset1:1
	s_cbranch_scc1 .LBB1_1
; %bb.2:
	v_add_nc_u32_e32 v83, 0x400, v155
	v_add_nc_u32_e32 v81, 0x800, v155
	;; [unrolled: 1-line block ×3, first 2 shown]
	s_waitcnt lgkmcnt(0)
	s_barrier
	ds_load_2addr_b32 v[113:114], v153 offset1:32
	ds_load_2addr_b32 v[97:98], v155 offset0:193 offset1:225
	ds_load_2addr_b32 v[99:100], v83 offset0:195 offset1:227
	;; [unrolled: 1-line block ×11, first 2 shown]
	v_add_nc_u32_e32 v65, 0x400, v153
	v_add_nc_u32_e32 v151, 0x1000, v155
	v_add_nc_u32_e32 v149, 0x1400, v155
	v_add_nc_u32_e32 v147, 0x1800, v155
	v_add_nc_u32_e32 v145, 0x1c00, v155
	v_add_nc_u32_e32 v69, 0x800, v153
	v_add_nc_u32_e32 v203, 0x1800, v153
	v_add_nc_u32_e32 v207, 0x1c00, v153
	s_mov_b32 s27, 0x31004000
	s_waitcnt lgkmcnt(10)
	v_mov_b32_e32 v82, v97
	s_waitcnt lgkmcnt(9)
	v_mov_b32_e32 v84, v99
	;; [unrolled: 2-line block ×4, first 2 shown]
	ds_load_2addr_b32 v[117:118], v65 offset0:4 offset1:36
	ds_load_2addr_b32 v[109:110], v65 offset0:69 offset1:101
	;; [unrolled: 1-line block ×4, first 2 shown]
	s_waitcnt lgkmcnt(8)
	v_dual_mov_b32 v101, v94 :: v_dual_add_nc_u32 v70, 0xc00, v153
	ds_load_2addr_b32 v[121:122], v151 offset0:201 offset1:233
	ds_load_2addr_b32 v[123:124], v149 offset0:203 offset1:235
	;; [unrolled: 1-line block ×9, first 2 shown]
	v_add_nc_u32_e32 v85, 0x1000, v153
	ds_load_2addr_b32 v[167:168], v70 offset0:77 offset1:109
	ds_load_2addr_b32 v[135:136], v70 offset0:142 offset1:174
	;; [unrolled: 1-line block ×3, first 2 shown]
	v_add_nc_u32_e32 v87, 0x1400, v153
	s_waitcnt lgkmcnt(16)
	v_dual_mov_b32 v97, v90 :: v_dual_mov_b32 v68, v108
	v_dual_mov_b32 v99, v92 :: v_dual_mov_b32 v66, v106
	v_mov_b32_e32 v103, v96
	v_mov_b32_e32 v65, v114
	;; [unrolled: 1-line block ×3, first 2 shown]
	v_dual_mov_b32 v114, v105 :: v_dual_add_nc_u32 v157, 0x2000, v155
	s_waitcnt lgkmcnt(9)
	v_mov_b32_e32 v94, v125
	s_waitcnt lgkmcnt(8)
	v_dual_mov_b32 v96, v127 :: v_dual_mov_b32 v71, v120
	s_waitcnt lgkmcnt(6)
	v_mov_b32_e32 v74, v164
	s_waitcnt lgkmcnt(5)
	v_dual_mov_b32 v75, v132 :: v_dual_mov_b32 v116, v107
	s_waitcnt lgkmcnt(4)
	v_mov_b32_e32 v76, v166
	ds_load_2addr_b32 v[137:138], v151 offset0:72 offset1:104
	ds_load_2addr_b32 v[139:140], v149 offset0:74 offset1:106
	;; [unrolled: 1-line block ×4, first 2 shown]
	v_mov_b32_e32 v120, v161
	ds_load_2addr_b32 v[169:170], v85 offset0:16 offset1:48
	v_mov_b32_e32 v132, v165
	ds_load_2addr_b32 v[105:106], v85 offset0:81 offset1:113
	ds_load_2addr_b32 v[171:172], v85 offset0:146 offset1:178
	;; [unrolled: 1-line block ×4, first 2 shown]
	s_waitcnt lgkmcnt(11)
	v_dual_mov_b32 v69, v118 :: v_dual_mov_b32 v78, v168
	v_mov_b32_e32 v70, v110
	v_mov_b32_e32 v72, v162
	v_dual_mov_b32 v77, v134 :: v_dual_mov_b32 v118, v109
	v_add_nc_u32_e32 v188, 0x2800, v155
	v_add_nc_u32_e32 v159, 0x2400, v155
	v_dual_mov_b32 v90, v121 :: v_dual_add_nc_u32 v189, 0x2c00, v155
	s_waitcnt lgkmcnt(9)
	v_dual_mov_b32 v73, v130 :: v_dual_mov_b32 v80, v176
	v_dual_mov_b32 v79, v136 :: v_dual_mov_b32 v130, v163
	ds_load_2addr_b32 v[109:110], v87 offset0:85 offset1:117
	v_mov_b32_e32 v134, v167
	v_mov_b32_e32 v136, v175
	v_wmma_f32_16x16x16_bf16 v[33:40], v[113:120], v[97:104], v[33:40]
	v_wmma_f32_16x16x16_bf16 v[25:32], v[65:72], v[97:104], v[25:32]
	ds_load_2addr_b32 v[161:162], v157 offset0:209 offset1:241
	ds_load_2addr_b32 v[163:164], v159 offset0:211 offset1:243
	;; [unrolled: 1-line block ×4, first 2 shown]
	s_waitcnt lgkmcnt(13)
	v_mov_b32_e32 v121, v138
	s_waitcnt lgkmcnt(8)
	v_mov_b32_e32 v98, v106
	ds_load_2addr_b32 v[165:166], v188 offset0:213 offset1:245
	ds_load_2addr_b32 v[167:168], v189 offset0:215 offset1:247
	;; [unrolled: 1-line block ×3, first 2 shown]
	v_dual_mov_b32 v92, v123 :: v_dual_mov_b32 v123, v140
	s_waitcnt lgkmcnt(9)
	v_dual_mov_b32 v125, v142 :: v_dual_mov_b32 v100, v108
	v_mov_b32_e32 v127, v144
	v_dual_mov_b32 v97, v170 :: v_dual_mov_b32 v170, v105
	v_dual_mov_b32 v99, v172 :: v_dual_mov_b32 v172, v107
	s_delay_alu instid0(VALU_DEP_3)
	v_wmma_f32_16x16x16_bf16 v[33:40], v[129:136], v[121:128], v[33:40]
	v_wmma_f32_16x16x16_bf16 v[25:32], v[73:80], v[121:128], v[25:32]
	s_waitcnt lgkmcnt(7)
	v_mov_b32_e32 v102, v110
	s_waitcnt lgkmcnt(6)
	v_dual_mov_b32 v101, v174 :: v_dual_mov_b32 v146, v161
	s_waitcnt lgkmcnt(4)
	v_dual_mov_b32 v174, v109 :: v_dual_mov_b32 v103, v176
	s_waitcnt lgkmcnt(3)
	v_mov_b32_e32 v104, v178
	v_mov_b32_e32 v176, v177
	;; [unrolled: 1-line block ×3, first 2 shown]
	s_waitcnt lgkmcnt(0)
	v_mov_b32_e32 v161, v184
	ds_load_2addr_b32 v[184:185], v159 offset0:82 offset1:114
	v_mov_b32_e32 v148, v163
	v_mov_b32_e32 v87, v95
	v_mov_b32_e32 v93, v141
	v_dual_mov_b32 v95, v143 :: v_dual_add_nc_u32 v190, 0x3800, v155
	s_waitcnt lgkmcnt(0)
	v_dual_mov_b32 v163, v185 :: v_dual_lshlrev_b32 v160, 4, v160
	ds_load_2addr_b32 v[185:186], v188 offset0:84 offset1:116
	s_waitcnt lgkmcnt(0)
	v_dual_mov_b32 v150, v165 :: v_dual_mov_b32 v165, v186
	ds_load_2addr_b32 v[186:187], v189 offset0:86 offset1:118
	ds_load_2addr_b32 v[106:107], v155 offset1:32
	ds_load_2addr_b32 v[121:122], v155 offset0:129 offset1:161
	ds_load_2addr_b32 v[123:124], v83 offset0:131 offset1:163
	;; [unrolled: 1-line block ×5, first 2 shown]
	v_dual_mov_b32 v152, v167 :: v_dual_mov_b32 v81, v89
	v_mov_b32_e32 v83, v91
	v_mov_b32_e32 v89, v137
	;; [unrolled: 1-line block ×3, first 2 shown]
	s_delay_alu instid0(VALU_DEP_3) | instskip(NEXT) | instid1(VALU_DEP_1)
	v_wmma_f32_16x16x16_bf16 v[41:48], v[113:120], v[81:88], v[41:48]
	v_wmma_f32_16x16x16_bf16 v[41:48], v[129:136], v[89:96], v[41:48]
	s_waitcnt lgkmcnt(6)
	v_mov_b32_e32 v167, v187
	s_waitcnt lgkmcnt(4)
	v_dual_mov_b32 v105, v106 :: v_dual_mov_b32 v106, v121
	s_waitcnt lgkmcnt(1)
	v_dual_mov_b32 v121, v107 :: v_dual_mov_b32 v110, v125
	v_wmma_f32_16x16x16_bf16 v[33:40], v[169:176], v[161:168], v[33:40]
	v_wmma_f32_16x16x16_bf16 v[25:32], v[97:104], v[161:168], v[25:32]
	v_dual_mov_b32 v107, v108 :: v_dual_mov_b32 v108, v123
	v_mov_b32_e32 v123, v109
	s_waitcnt lgkmcnt(0)
	v_mov_b32_e32 v109, v127
	v_mov_b32_e32 v125, v128
	ds_load_2addr_b32 v[127:128], v111 offset0:135 offset1:167
	ds_load_2addr_b32 v[161:162], v111 offset0:6 offset1:38
	s_waitcnt lgkmcnt(0)
	v_dual_mov_b32 v112, v127 :: v_dual_mov_b32 v111, v161
	v_mov_b32_e32 v127, v162
	s_delay_alu instid0(VALU_DEP_2) | instskip(NEXT) | instid1(VALU_DEP_2)
	v_wmma_f32_16x16x16_bf16 v[57:64], v[113:120], v[105:112], v[57:64]
	v_wmma_f32_16x16x16_bf16 v[49:56], v[113:120], v[121:128], v[49:56]
	ds_load_2addr_b32 v[114:115], v151 offset0:8 offset1:40
	ds_load_2addr_b32 v[161:162], v151 offset0:137 offset1:169
	;; [unrolled: 1-line block ×9, first 2 shown]
	v_mov_b32_e32 v145, v183
	v_mov_b32_e32 v147, v184
	;; [unrolled: 1-line block ×4, first 2 shown]
	s_delay_alu instid0(VALU_DEP_1)
	v_wmma_f32_16x16x16_bf16 v[41:48], v[169:176], v[145:152], v[41:48]
	s_waitcnt lgkmcnt(7)
	v_dual_mov_b32 v113, v114 :: v_dual_mov_b32 v114, v161
	v_mov_b32_e32 v161, v115
	s_waitcnt lgkmcnt(5)
	v_dual_mov_b32 v115, v116 :: v_dual_mov_b32 v116, v163
	v_mov_b32_e32 v163, v117
	;; [unrolled: 3-line block ×4, first 2 shown]
	ds_load_2addr_b32 v[138:139], v157 offset0:16 offset1:48
	v_add_nc_u32_e32 v157, 0x3000, v155
	v_wmma_f32_16x16x16_bf16 v[57:64], v[129:136], v[113:120], v[57:64]
	v_wmma_f32_16x16x16_bf16 v[49:56], v[129:136], v[161:168], v[49:56]
	ds_load_2addr_b32 v[179:180], v159 offset0:147 offset1:179
	ds_load_2addr_b32 v[129:130], v159 offset0:18 offset1:50
	v_add_nc_u32_e32 v159, 0x3400, v155
	v_add_nc_u32_e32 v155, 0x3c00, v155
	s_waitcnt lgkmcnt(2)
	v_dual_mov_b32 v137, v138 :: v_dual_mov_b32 v138, v177
	v_mov_b32_e32 v177, v139
	s_waitcnt lgkmcnt(0)
	v_dual_mov_b32 v140, v179 :: v_dual_mov_b32 v139, v129
	v_mov_b32_e32 v179, v130
	ds_load_2addr_b32 v[181:182], v188 offset0:149 offset1:181
	ds_load_2addr_b32 v[129:130], v188 offset0:20 offset1:52
	v_wmma_f32_16x16x16_bf16 v[17:24], v[65:72], v[81:88], v[17:24]
	s_waitcnt lgkmcnt(1)
	v_mov_b32_e32 v142, v181
	s_waitcnt lgkmcnt(0)
	v_mov_b32_e32 v141, v129
	v_mov_b32_e32 v181, v130
	ds_load_2addr_b32 v[183:184], v189 offset0:151 offset1:183
	ds_load_2addr_b32 v[129:130], v189 offset0:22 offset1:54
	v_wmma_f32_16x16x16_bf16 v[9:16], v[65:72], v[121:128], v[9:16]
	s_waitcnt lgkmcnt(0)
	v_dual_mov_b32 v144, v183 :: v_dual_mov_b32 v143, v129
	v_mov_b32_e32 v183, v130
	ds_load_2addr_b32 v[130:131], v157 offset0:24 offset1:56
	v_wmma_f32_16x16x16_bf16 v[57:64], v[169:176], v[137:144], v[57:64]
	v_wmma_f32_16x16x16_bf16 v[49:56], v[169:176], v[177:184], v[49:56]
	ds_load_2addr_b32 v[169:170], v157 offset0:153 offset1:185
	ds_load_2addr_b32 v[171:172], v159 offset0:155 offset1:187
	;; [unrolled: 1-line block ×7, first 2 shown]
	s_waitcnt lgkmcnt(6)
	v_dual_mov_b32 v129, v130 :: v_dual_mov_b32 v130, v169
	v_mov_b32_e32 v169, v131
	s_waitcnt lgkmcnt(0)
	v_dual_mov_b32 v136, v175 :: v_dual_mov_b32 v175, v186
	ds_load_2addr_b32 v[186:187], v157 offset0:88 offset1:120
	ds_load_2addr_b32 v[193:194], v157 offset0:217 offset1:249
	;; [unrolled: 1-line block ×8, first 2 shown]
	v_dual_mov_b32 v131, v132 :: v_dual_mov_b32 v132, v171
	v_mov_b32_e32 v171, v133
	v_dual_mov_b32 v133, v134 :: v_dual_mov_b32 v134, v173
	v_mov_b32_e32 v173, v135
	v_mov_b32_e32 v135, v185
	ds_load_2addr_b32 v[209:210], v203 offset0:24 offset1:56
	ds_load_2addr_b32 v[211:212], v203 offset0:154 offset1:186
	;; [unrolled: 1-line block ×6, first 2 shown]
	s_waitcnt lgkmcnt(12)
	v_dual_mov_b32 v185, v186 :: v_dual_mov_b32 v186, v193
	v_mov_b32_e32 v193, v187
	s_waitcnt lgkmcnt(10)
	v_dual_mov_b32 v187, v188 :: v_dual_mov_b32 v188, v195
	v_mov_b32_e32 v195, v189
	;; [unrolled: 3-line block ×4, first 2 shown]
	ds_load_2addr_b32 v[201:202], v203 offset0:89 offset1:121
	ds_load_2addr_b32 v[203:204], v203 offset0:219 offset1:251
	s_waitcnt lgkmcnt(7)
	v_mov_b32_e32 v153, v210
	s_waitcnt lgkmcnt(6)
	v_mov_b32_e32 v155, v212
	;; [unrolled: 2-line block ×3, first 2 shown]
	s_waitcnt lgkmcnt(3)
	v_dual_mov_b32 v159, v216 :: v_dual_mov_b32 v214, v205
	s_waitcnt lgkmcnt(2)
	v_mov_b32_e32 v216, v207
	s_waitcnt lgkmcnt(0)
	s_barrier
	v_wmma_f32_16x16x16_bf16 v[9:16], v[73:80], v[161:168], v[9:16]
	v_dual_mov_b32 v210, v201 :: v_dual_and_b32 v201, 8, v156
	v_and_b32_e32 v156, 16, v156
	v_mov_b32_e32 v212, v203
	v_wmma_f32_16x16x16_bf16 v[17:24], v[73:80], v[89:96], v[17:24]
	s_delay_alu instid0(VALU_DEP_4) | instskip(NEXT) | instid1(VALU_DEP_3)
	v_and_or_b32 v160, v160, 16, v201
	v_wmma_f32_16x16x16_bf16 v[57:64], v[209:216], v[129:136], v[57:64]
	v_wmma_f32_16x16x16_bf16 v[49:56], v[209:216], v[169:176], v[49:56]
	;; [unrolled: 1-line block ×3, first 2 shown]
	s_delay_alu instid0(VALU_DEP_4) | instskip(SKIP_1) | instid1(VALU_DEP_2)
	v_lshlrev_b32_e32 v160, 5, v160
	v_wmma_f32_16x16x16_bf16 v[33:40], v[209:216], v[193:200], v[33:40]
	v_or3_b32 v156, v160, v156, v158
	s_delay_alu instid0(VALU_DEP_1)
	v_lshlrev_b32_e32 v201, 2, v156
	ds_store_2addr_b32 v201, v57, v58 offset1:32
	ds_store_2addr_b32 v201, v59, v60 offset0:64 offset1:96
	ds_store_2addr_b32 v201, v61, v62 offset0:128 offset1:160
	;; [unrolled: 1-line block ×3, first 2 shown]
	v_lshrrev_b32_e32 v57, 7, v0
	v_bfe_u32 v0, v0, 2, 5
	s_waitcnt lgkmcnt(0)
	s_barrier
	s_delay_alu instid0(VALU_DEP_2) | instskip(NEXT) | instid1(VALU_DEP_2)
	v_lshlrev_b32_e32 v58, 10, v57
	v_lshlrev_b32_e32 v59, 5, v0
	v_add_nc_u32_e32 v57, s23, v57
	s_delay_alu instid0(VALU_DEP_2) | instskip(NEXT) | instid1(VALU_DEP_1)
	v_or3_b32 v58, v59, v58, v154
	v_lshlrev_b32_e32 v59, 2, v58
	ds_load_b128 v[60:63], v59
	s_waitcnt lgkmcnt(0)
	v_bfe_u32 v58, v60, 16, 1
	v_cmp_o_f32_e32 vcc_lo, v60, v60
	v_cmp_o_f32_e64 s0, v61, v61
	v_cmp_o_f32_e64 s1, v62, v62
	;; [unrolled: 1-line block ×3, first 2 shown]
	v_add3_u32 v58, v60, v58, 0x7fff
	v_bfe_u32 v60, v61, 16, 1
	s_delay_alu instid0(VALU_DEP_2) | instskip(NEXT) | instid1(VALU_DEP_2)
	v_lshrrev_b32_e32 v58, 16, v58
	v_add3_u32 v156, v61, v60, 0x7fff
	v_bfe_u32 v60, v62, 16, 1
	s_delay_alu instid0(VALU_DEP_3) | instskip(NEXT) | instid1(VALU_DEP_2)
	v_cndmask_b32_e32 v58, 0x7fc0, v58, vcc_lo
	v_add3_u32 v158, v62, v60, 0x7fff
	v_bfe_u32 v60, v63, 16, 1
	s_delay_alu instid0(VALU_DEP_1)
	v_add3_u32 v160, v63, v60, 0x7fff
	ds_load_b128 v[60:63], v59 offset:16
	s_waitcnt lgkmcnt(0)
	v_bfe_u32 v64, v60, 16, 1
	v_bfe_u32 v203, v61, 16, 1
	;; [unrolled: 1-line block ×4, first 2 shown]
	v_cmp_o_f32_e64 s3, v61, v61
	v_add3_u32 v64, v60, v64, 0x7fff
	v_add3_u32 v203, v61, v203, 0x7fff
	;; [unrolled: 1-line block ×4, first 2 shown]
	v_cmp_o_f32_e64 s4, v62, v62
	v_cmp_o_f32_e64 s5, v63, v63
	;; [unrolled: 1-line block ×3, first 2 shown]
	v_lshrrev_b32_e32 v60, 16, v64
	v_lshrrev_b32_e32 v61, 16, v205
	;; [unrolled: 1-line block ×4, first 2 shown]
	s_delay_alu instid0(VALU_DEP_4) | instskip(NEXT) | instid1(VALU_DEP_4)
	v_cndmask_b32_e64 v60, 0x7fc0, v60, s6
	v_cndmask_b32_e64 v61, 0x7fc0, v61, s4
	s_delay_alu instid0(VALU_DEP_4) | instskip(NEXT) | instid1(VALU_DEP_4)
	v_cndmask_b32_e64 v62, 0x7fc0, v62, s5
	v_cndmask_b32_e64 v63, 0x7fc0, v63, s3
	s_delay_alu instid0(VALU_DEP_2) | instskip(NEXT) | instid1(VALU_DEP_2)
	v_perm_b32 v64, v62, v61, 0x5040100
	v_perm_b32 v63, v63, v60, 0x5040100
	v_lshrrev_b32_e32 v60, 16, v158
	v_lshrrev_b32_e32 v61, 16, v160
	v_mov_b32_e32 v158, v206
	v_mov_b32_e32 v160, v208
	s_delay_alu instid0(VALU_DEP_4) | instskip(NEXT) | instid1(VALU_DEP_4)
	v_cndmask_b32_e64 v60, 0x7fc0, v60, s1
	v_cndmask_b32_e64 v61, 0x7fc0, v61, s2
	s_delay_alu instid0(VALU_DEP_1) | instskip(SKIP_2) | instid1(VALU_DEP_2)
	v_perm_b32 v62, v61, v60, 0x5040100
	v_lshrrev_b32_e32 v60, 16, v156
	v_mov_b32_e32 v156, v204
	v_cndmask_b32_e64 v60, 0x7fc0, v60, s0
	s_delay_alu instid0(VALU_DEP_1) | instskip(SKIP_3) | instid1(VALU_DEP_2)
	v_perm_b32 v61, v60, v58, 0x5040100
	v_lshl_or_b32 v60, v57, 6, v0
	v_or_b32_e32 v0, s26, v154
	s_lshl_b32 s26, s22, 1
	v_cmp_gt_i32_e64 s1, s33, v60
	s_delay_alu instid0(VALU_DEP_2) | instskip(SKIP_2) | instid1(VALU_DEP_4)
	v_mad_u64_u32 v[57:58], null, v60, s34, v[0:1]
	v_cmp_gt_i32_e32 vcc_lo, s35, v0
	v_wmma_f32_16x16x16_bf16 v[1:8], v[65:72], v[105:112], v[1:8]
	s_and_b32 s0, vcc_lo, s1
	s_delay_alu instid0(VALU_DEP_3) | instskip(SKIP_1) | instid1(VALU_DEP_3)
	v_lshlrev_b32_e32 v58, 1, v57
	v_cndmask_b32_e64 v154, 0x80000000, 0, s0
	v_wmma_f32_16x16x16_bf16 v[1:8], v[73:80], v[113:120], v[1:8]
	s_delay_alu instid0(VALU_DEP_2) | instskip(NEXT) | instid1(VALU_DEP_2)
	v_add_nc_u32_e32 v154, v154, v58
	v_wmma_f32_16x16x16_bf16 v[1:8], v[97:104], v[137:144], v[1:8]
	buffer_store_b128 v[61:64], v154, s[24:27], 0 offen
	s_waitcnt lgkmcnt(0)
	s_waitcnt_vscnt null, 0x0
	s_barrier
	ds_store_2addr_b32 v201, v49, v50 offset1:32
	ds_store_2addr_b32 v201, v51, v52 offset0:64 offset1:96
	ds_store_2addr_b32 v201, v53, v54 offset0:128 offset1:160
	;; [unrolled: 1-line block ×3, first 2 shown]
	s_waitcnt lgkmcnt(0)
	s_barrier
	ds_load_b128 v[49:52], v59
	v_mov_b32_e32 v154, v202
	v_wmma_f32_16x16x16_bf16 v[17:24], v[97:104], v[145:152], v[17:24]
	s_delay_alu instid0(VALU_DEP_2) | instskip(NEXT) | instid1(VALU_DEP_2)
	v_wmma_f32_16x16x16_bf16 v[25:32], v[153:160], v[193:200], v[25:32]
	v_wmma_f32_16x16x16_bf16 v[17:24], v[153:160], v[185:192], v[17:24]
	s_waitcnt lgkmcnt(0)
	v_bfe_u32 v53, v49, 16, 1
	v_cmp_o_f32_e64 s0, v49, v49
	v_cmp_o_f32_e64 s2, v50, v50
	;; [unrolled: 1-line block ×4, first 2 shown]
	v_add3_u32 v53, v49, v53, 0x7fff
	v_bfe_u32 v49, v50, 16, 1
	s_delay_alu instid0(VALU_DEP_1) | instskip(SKIP_1) | instid1(VALU_DEP_1)
	v_add3_u32 v54, v50, v49, 0x7fff
	v_bfe_u32 v49, v51, 16, 1
	v_add3_u32 v55, v51, v49, 0x7fff
	v_bfe_u32 v49, v52, 16, 1
	s_delay_alu instid0(VALU_DEP_1)
	v_add3_u32 v56, v52, v49, 0x7fff
	ds_load_b128 v[49:52], v59 offset:16
	s_waitcnt lgkmcnt(0)
	v_bfe_u32 v61, v49, 16, 1
	v_bfe_u32 v62, v50, 16, 1
	;; [unrolled: 1-line block ×4, first 2 shown]
	v_cmp_o_f32_e64 s5, v50, v50
	v_add3_u32 v61, v49, v61, 0x7fff
	v_add3_u32 v62, v50, v62, 0x7fff
	;; [unrolled: 1-line block ×4, first 2 shown]
	v_cmp_o_f32_e64 s6, v51, v51
	v_cmp_o_f32_e64 s7, v52, v52
	;; [unrolled: 1-line block ×3, first 2 shown]
	v_lshrrev_b32_e32 v49, 16, v61
	v_lshrrev_b32_e32 v50, 16, v63
	;; [unrolled: 1-line block ×4, first 2 shown]
	s_delay_alu instid0(VALU_DEP_4) | instskip(NEXT) | instid1(VALU_DEP_4)
	v_cndmask_b32_e64 v49, 0x7fc0, v49, s8
	v_cndmask_b32_e64 v50, 0x7fc0, v50, s6
	s_delay_alu instid0(VALU_DEP_4) | instskip(NEXT) | instid1(VALU_DEP_4)
	v_cndmask_b32_e64 v51, 0x7fc0, v51, s7
	v_cndmask_b32_e64 v61, 0x7fc0, v52, s5
	s_delay_alu instid0(VALU_DEP_2) | instskip(NEXT) | instid1(VALU_DEP_2)
	v_perm_b32 v52, v51, v50, 0x5040100
	v_perm_b32 v51, v61, v49, 0x5040100
	v_lshrrev_b32_e32 v49, 16, v55
	v_lshrrev_b32_e32 v50, 16, v56
	s_delay_alu instid0(VALU_DEP_2) | instskip(NEXT) | instid1(VALU_DEP_2)
	v_cndmask_b32_e64 v49, 0x7fc0, v49, s3
	v_cndmask_b32_e64 v50, 0x7fc0, v50, s4
	s_delay_alu instid0(VALU_DEP_1) | instskip(SKIP_2) | instid1(VALU_DEP_2)
	v_perm_b32 v50, v50, v49, 0x5040100
	v_lshrrev_b32_e32 v49, 16, v53
	v_lshrrev_b32_e32 v53, 16, v54
	v_cndmask_b32_e64 v49, 0x7fc0, v49, s0
	s_delay_alu instid0(VALU_DEP_2) | instskip(NEXT) | instid1(VALU_DEP_1)
	v_cndmask_b32_e64 v53, 0x7fc0, v53, s2
	v_perm_b32 v49, v53, v49, 0x5040100
	v_or_b32_e32 v53, 32, v0
	s_delay_alu instid0(VALU_DEP_1) | instskip(NEXT) | instid1(VALU_DEP_1)
	v_cmp_gt_i32_e64 s0, s35, v53
	s_and_b32 s2, s1, s0
	s_delay_alu instid0(SALU_CYCLE_1) | instskip(NEXT) | instid1(VALU_DEP_1)
	v_cndmask_b32_e64 v53, 0x80000000, 0, s2
	v_add_nc_u32_e32 v53, v58, v53
	buffer_store_b128 v[49:52], v53, s[24:27], 0 offen offset:64
	s_waitcnt lgkmcnt(0)
	s_waitcnt_vscnt null, 0x0
	s_barrier
	ds_store_2addr_b32 v201, v41, v42 offset1:32
	ds_store_2addr_b32 v201, v43, v44 offset0:64 offset1:96
	ds_store_2addr_b32 v201, v45, v46 offset0:128 offset1:160
	;; [unrolled: 1-line block ×3, first 2 shown]
	s_waitcnt lgkmcnt(0)
	s_barrier
	ds_load_b128 v[41:44], v59
	s_waitcnt lgkmcnt(0)
	v_bfe_u32 v45, v41, 16, 1
	v_cmp_o_f32_e64 s2, v41, v41
	v_cmp_o_f32_e64 s3, v42, v42
	;; [unrolled: 1-line block ×4, first 2 shown]
	v_add3_u32 v45, v41, v45, 0x7fff
	v_bfe_u32 v41, v42, 16, 1
	s_delay_alu instid0(VALU_DEP_1) | instskip(SKIP_1) | instid1(VALU_DEP_1)
	v_add3_u32 v46, v42, v41, 0x7fff
	v_bfe_u32 v41, v43, 16, 1
	v_add3_u32 v47, v43, v41, 0x7fff
	v_bfe_u32 v41, v44, 16, 1
	s_delay_alu instid0(VALU_DEP_1)
	v_add3_u32 v48, v44, v41, 0x7fff
	ds_load_b128 v[41:44], v59 offset:16
	s_waitcnt lgkmcnt(0)
	v_bfe_u32 v49, v41, 16, 1
	v_bfe_u32 v50, v42, 16, 1
	;; [unrolled: 1-line block ×4, first 2 shown]
	v_cmp_o_f32_e64 s6, v42, v42
	v_add3_u32 v49, v41, v49, 0x7fff
	v_add3_u32 v50, v42, v50, 0x7fff
	v_add3_u32 v51, v43, v51, 0x7fff
	v_add3_u32 v52, v44, v52, 0x7fff
	v_cmp_o_f32_e64 s7, v43, v43
	v_cmp_o_f32_e64 s8, v44, v44
	;; [unrolled: 1-line block ×3, first 2 shown]
	v_lshrrev_b32_e32 v41, 16, v49
	v_lshrrev_b32_e32 v42, 16, v51
	;; [unrolled: 1-line block ×4, first 2 shown]
	s_delay_alu instid0(VALU_DEP_4) | instskip(NEXT) | instid1(VALU_DEP_4)
	v_cndmask_b32_e64 v41, 0x7fc0, v41, s9
	v_cndmask_b32_e64 v42, 0x7fc0, v42, s7
	s_delay_alu instid0(VALU_DEP_4) | instskip(NEXT) | instid1(VALU_DEP_4)
	v_cndmask_b32_e64 v43, 0x7fc0, v43, s8
	v_cndmask_b32_e64 v49, 0x7fc0, v44, s6
	s_delay_alu instid0(VALU_DEP_2) | instskip(NEXT) | instid1(VALU_DEP_2)
	v_perm_b32 v44, v43, v42, 0x5040100
	v_perm_b32 v43, v49, v41, 0x5040100
	v_lshrrev_b32_e32 v41, 16, v47
	v_lshrrev_b32_e32 v42, 16, v48
	s_delay_alu instid0(VALU_DEP_2) | instskip(NEXT) | instid1(VALU_DEP_2)
	v_cndmask_b32_e64 v41, 0x7fc0, v41, s4
	v_cndmask_b32_e64 v42, 0x7fc0, v42, s5
	s_delay_alu instid0(VALU_DEP_1) | instskip(SKIP_2) | instid1(VALU_DEP_2)
	v_perm_b32 v42, v42, v41, 0x5040100
	v_lshrrev_b32_e32 v41, 16, v45
	v_lshrrev_b32_e32 v45, 16, v46
	v_cndmask_b32_e64 v41, 0x7fc0, v41, s2
	s_delay_alu instid0(VALU_DEP_2) | instskip(NEXT) | instid1(VALU_DEP_1)
	v_cndmask_b32_e64 v45, 0x7fc0, v45, s3
	v_perm_b32 v41, v45, v41, 0x5040100
	v_or_b32_e32 v45, 64, v0
	v_or_b32_e32 v0, 0x60, v0
	s_delay_alu instid0(VALU_DEP_2) | instskip(NEXT) | instid1(VALU_DEP_1)
	v_cmp_gt_i32_e64 s2, s35, v45
	s_and_b32 s3, s1, s2
	s_delay_alu instid0(SALU_CYCLE_1) | instskip(NEXT) | instid1(VALU_DEP_1)
	v_cndmask_b32_e64 v45, 0x80000000, 0, s3
	v_add_nc_u32_e32 v45, v58, v45
	buffer_store_b128 v[41:44], v45, s[24:27], 0 offen offset:128
	s_waitcnt lgkmcnt(0)
	s_waitcnt_vscnt null, 0x0
	s_barrier
	ds_store_2addr_b32 v201, v33, v34 offset1:32
	ds_store_2addr_b32 v201, v35, v36 offset0:64 offset1:96
	ds_store_2addr_b32 v201, v37, v38 offset0:128 offset1:160
	;; [unrolled: 1-line block ×3, first 2 shown]
	s_waitcnt lgkmcnt(0)
	s_barrier
	ds_load_b128 v[33:36], v59 offset:16
	s_waitcnt lgkmcnt(0)
	v_bfe_u32 v37, v33, 16, 1
	v_bfe_u32 v38, v34, 16, 1
	;; [unrolled: 1-line block ×3, first 2 shown]
	v_cmp_o_f32_e64 s3, v33, v33
	v_cmp_o_f32_e64 s4, v34, v34
	v_add3_u32 v37, v33, v37, 0x7fff
	v_bfe_u32 v33, v36, 16, 1
	v_add3_u32 v38, v34, v38, 0x7fff
	v_add3_u32 v39, v35, v39, 0x7fff
	v_cmp_o_f32_e64 s5, v35, v35
	v_cmp_o_f32_e64 s6, v36, v36
	v_add3_u32 v40, v36, v33, 0x7fff
	ds_load_b128 v[33:36], v59
	s_waitcnt lgkmcnt(0)
	v_bfe_u32 v41, v33, 16, 1
	v_bfe_u32 v42, v34, 16, 1
	;; [unrolled: 1-line block ×3, first 2 shown]
	v_cmp_o_f32_e64 s7, v33, v33
	v_cmp_o_f32_e64 s8, v34, v34
	v_add3_u32 v41, v33, v41, 0x7fff
	v_bfe_u32 v33, v36, 16, 1
	v_add3_u32 v42, v34, v42, 0x7fff
	v_add3_u32 v43, v35, v43, 0x7fff
	v_cmp_o_f32_e64 s9, v35, v35
	v_cmp_o_f32_e64 s10, v36, v36
	v_add3_u32 v33, v36, v33, 0x7fff
	v_lshrrev_b32_e32 v34, 16, v37
	v_lshrrev_b32_e32 v35, 16, v39
	;; [unrolled: 1-line block ×5, first 2 shown]
	v_cndmask_b32_e64 v34, 0x7fc0, v34, s3
	v_cndmask_b32_e64 v35, 0x7fc0, v35, s5
	;; [unrolled: 1-line block ×4, first 2 shown]
	v_cmp_gt_i32_e64 s3, s35, v0
	v_lshrrev_b32_e32 v0, 16, v43
	v_cndmask_b32_e64 v33, 0x7fc0, v33, s10
	v_perm_b32 v36, v36, v35, 0x5040100
	v_perm_b32 v35, v37, v34, 0x5040100
	v_lshrrev_b32_e32 v37, 16, v41
	v_cndmask_b32_e64 v0, 0x7fc0, v0, s9
	v_lshrrev_b32_e32 v38, 16, v42
	s_and_b32 s1, s1, s3
	s_delay_alu instid0(VALU_DEP_2)
	v_perm_b32 v34, v33, v0, 0x5040100
	v_add_nc_u32_e32 v0, 0x60, v57
	v_cndmask_b32_e64 v33, 0x7fc0, v37, s7
	v_cndmask_b32_e64 v37, 0x7fc0, v38, s8
	;; [unrolled: 1-line block ×3, first 2 shown]
	s_lshl_b32 s8, s34, 5
	v_wmma_f32_16x16x16_bf16 v[9:16], v[97:104], v[177:184], v[9:16]
	s_delay_alu instid0(VALU_DEP_3) | instskip(NEXT) | instid1(VALU_DEP_3)
	v_perm_b32 v33, v37, v33, 0x5040100
	v_lshl_add_u32 v37, v0, 1, v38
	v_add_lshl_u32 v0, v0, s8, 1
	s_delay_alu instid0(VALU_DEP_4)
	v_wmma_f32_16x16x16_bf16 v[9:16], v[153:160], v[169:176], v[9:16]
	buffer_store_b128 v[33:36], v37, s[24:27], 0 offen
	s_waitcnt lgkmcnt(0)
	s_waitcnt_vscnt null, 0x0
	s_barrier
	ds_store_2addr_b32 v201, v25, v26 offset1:32
	ds_store_2addr_b32 v201, v27, v28 offset0:64 offset1:96
	ds_store_2addr_b32 v201, v29, v30 offset0:128 offset1:160
	;; [unrolled: 1-line block ×3, first 2 shown]
	s_waitcnt lgkmcnt(0)
	s_barrier
	ds_load_b128 v[25:28], v59
	ds_load_b128 v[29:32], v59 offset:16
	v_or_b32_e32 v36, 32, v60
	s_waitcnt lgkmcnt(1)
	v_bfe_u32 v33, v25, 16, 1
	v_bfe_u32 v35, v27, 16, 1
	v_cmp_o_f32_e64 s1, v25, v25
	v_bfe_u32 v34, v26, 16, 1
	v_cmp_o_f32_e64 s4, v26, v26
	v_add3_u32 v33, v25, v33, 0x7fff
	v_add3_u32 v25, v27, v35, 0x7fff
	v_bfe_u32 v35, v28, 16, 1
	v_add3_u32 v34, v26, v34, 0x7fff
	s_waitcnt lgkmcnt(0)
	v_bfe_u32 v37, v32, 16, 1
	v_lshrrev_b32_e32 v33, 16, v33
	v_lshrrev_b32_e32 v25, 16, v25
	v_add3_u32 v26, v28, v35, 0x7fff
	v_bfe_u32 v35, v31, 16, 1
	v_lshrrev_b32_e32 v34, 16, v34
	v_cndmask_b32_e64 v33, 0x7fc0, v33, s1
	v_cmp_o_f32_e64 s1, v27, v27
	v_bfe_u32 v27, v29, 16, 1
	v_lshrrev_b32_e32 v26, 16, v26
	v_add3_u32 v35, v31, v35, 0x7fff
	v_add3_u32 v37, v32, v37, 0x7fff
	v_cndmask_b32_e64 v25, 0x7fc0, v25, s1
	v_cmp_o_f32_e64 s1, v28, v28
	v_bfe_u32 v28, v30, 16, 1
	v_add3_u32 v27, v29, v27, 0x7fff
	v_cndmask_b32_e64 v34, 0x7fc0, v34, s4
	v_lshrrev_b32_e32 v35, 16, v35
	v_cndmask_b32_e64 v26, 0x7fc0, v26, s1
	v_add3_u32 v28, v30, v28, 0x7fff
	v_cmp_gt_i32_e64 s1, s33, v36
	v_lshrrev_b32_e32 v27, 16, v27
	v_cmp_o_f32_e64 s4, v29, v29
	v_lshrrev_b32_e32 v29, 16, v37
	v_lshrrev_b32_e32 v28, 16, v28
	v_cmp_o_f32_e64 s5, v31, v31
	v_cmp_o_f32_e64 s6, v32, v32
	;; [unrolled: 1-line block ×3, first 2 shown]
	s_and_b32 s3, s3, s1
	v_cndmask_b32_e64 v27, 0x7fc0, v27, s4
	v_cndmask_b32_e64 v30, 0x7fc0, v35, s5
	;; [unrolled: 1-line block ×5, first 2 shown]
	v_perm_b32 v26, v26, v25, 0x5040100
	v_perm_b32 v25, v34, v33, 0x5040100
	;; [unrolled: 1-line block ×4, first 2 shown]
	v_add_nc_u32_e32 v29, v0, v32
	s_and_b32 s2, s2, s1
	s_and_b32 s0, s0, s1
	s_and_b32 s1, vcc_lo, s1
	buffer_store_b128 v[25:28], v29, s[24:27], 0 offen
	s_waitcnt lgkmcnt(0)
	s_waitcnt_vscnt null, 0x0
	s_barrier
	ds_store_2addr_b32 v201, v17, v18 offset1:32
	ds_store_2addr_b32 v201, v19, v20 offset0:64 offset1:96
	ds_store_2addr_b32 v201, v21, v22 offset0:128 offset1:160
	;; [unrolled: 1-line block ×3, first 2 shown]
	s_waitcnt lgkmcnt(0)
	s_barrier
	ds_load_b128 v[17:20], v59
	ds_load_b128 v[21:24], v59 offset:16
	s_waitcnt lgkmcnt(1)
	v_bfe_u32 v25, v17, 16, 1
	v_bfe_u32 v27, v19, 16, 1
	v_cmp_o_f32_e64 s3, v17, v17
	v_bfe_u32 v26, v18, 16, 1
	s_waitcnt lgkmcnt(0)
	v_bfe_u32 v28, v23, 16, 1
	v_add3_u32 v25, v17, v25, 0x7fff
	v_add3_u32 v17, v19, v27, 0x7fff
	v_bfe_u32 v27, v20, 16, 1
	v_add3_u32 v26, v18, v26, 0x7fff
	v_cmp_o_f32_e64 s4, v18, v18
	v_lshrrev_b32_e32 v25, 16, v25
	v_lshrrev_b32_e32 v17, 16, v17
	v_bfe_u32 v18, v22, 16, 1
	v_bfe_u32 v29, v24, 16, 1
	v_add3_u32 v27, v20, v27, 0x7fff
	v_cndmask_b32_e64 v25, 0x7fc0, v25, s3
	v_cmp_o_f32_e64 s3, v19, v19
	v_bfe_u32 v19, v21, 16, 1
	v_add3_u32 v18, v22, v18, 0x7fff
	v_cmp_o_f32_e64 s5, v23, v23
	v_lshrrev_b32_e32 v26, 16, v26
	v_cndmask_b32_e64 v17, 0x7fc0, v17, s3
	v_add3_u32 v19, v21, v19, 0x7fff
	v_cmp_o_f32_e64 s3, v21, v21
	v_add3_u32 v21, v23, v28, 0x7fff
	v_add3_u32 v28, v24, v29, 0x7fff
	v_lshrrev_b32_e32 v27, 16, v27
	v_lshrrev_b32_e32 v19, 16, v19
	;; [unrolled: 1-line block ×4, first 2 shown]
	v_cmp_o_f32_e64 s6, v24, v24
	v_cmp_o_f32_e64 s7, v20, v20
	v_cndmask_b32_e64 v19, 0x7fc0, v19, s3
	v_cmp_o_f32_e64 s3, v22, v22
	v_lshrrev_b32_e32 v22, 16, v28
	v_cndmask_b32_e64 v20, 0x7fc0, v21, s5
	v_not_b32_e32 v21, 63
	v_cndmask_b32_e64 v23, 0x7fc0, v27, s7
	v_cndmask_b32_e64 v18, 0x7fc0, v18, s3
	v_cndmask_b32_e64 v22, 0x7fc0, v22, s6
	v_cndmask_b32_e64 v24, 0x7fc0, v26, s4
	v_cndmask_b32_e64 v21, 0x7fffffc0, v21, s2
	s_delay_alu instid0(VALU_DEP_4) | instskip(NEXT) | instid1(VALU_DEP_4)
	v_perm_b32 v19, v18, v19, 0x5040100
	v_perm_b32 v20, v22, v20, 0x5040100
	;; [unrolled: 1-line block ×4, first 2 shown]
	v_add_nc_u32_e32 v21, v21, v0
	buffer_store_b128 v[17:20], v21, s[24:27], 0 offen
	s_waitcnt lgkmcnt(0)
	s_waitcnt_vscnt null, 0x0
	s_barrier
	ds_store_2addr_b32 v201, v9, v10 offset1:32
	ds_store_2addr_b32 v201, v11, v12 offset0:64 offset1:96
	ds_store_2addr_b32 v201, v13, v14 offset0:128 offset1:160
	;; [unrolled: 1-line block ×3, first 2 shown]
	s_waitcnt lgkmcnt(0)
	s_barrier
	ds_load_b128 v[9:12], v59
	ds_load_b128 v[13:16], v59 offset:16
	s_waitcnt lgkmcnt(1)
	v_bfe_u32 v17, v9, 16, 1
	v_bfe_u32 v19, v11, 16, 1
	v_cmp_o_f32_e64 s2, v9, v9
	v_bfe_u32 v18, v10, 16, 1
	s_waitcnt lgkmcnt(0)
	v_bfe_u32 v20, v15, 16, 1
	v_add3_u32 v17, v9, v17, 0x7fff
	v_add3_u32 v9, v11, v19, 0x7fff
	v_bfe_u32 v19, v12, 16, 1
	v_add3_u32 v18, v10, v18, 0x7fff
	v_cmp_o_f32_e64 s3, v10, v10
	v_lshrrev_b32_e32 v17, 16, v17
	v_lshrrev_b32_e32 v9, 16, v9
	v_bfe_u32 v10, v14, 16, 1
	v_bfe_u32 v21, v16, 16, 1
	v_add3_u32 v19, v12, v19, 0x7fff
	v_cndmask_b32_e64 v17, 0x7fc0, v17, s2
	v_cmp_o_f32_e64 s2, v11, v11
	v_bfe_u32 v11, v13, 16, 1
	v_add3_u32 v10, v14, v10, 0x7fff
	v_cmp_o_f32_e64 s4, v15, v15
	v_lshrrev_b32_e32 v18, 16, v18
	v_cndmask_b32_e64 v9, 0x7fc0, v9, s2
	v_add3_u32 v11, v13, v11, 0x7fff
	v_cmp_o_f32_e64 s2, v13, v13
	v_add3_u32 v13, v15, v20, 0x7fff
	v_add3_u32 v20, v16, v21, 0x7fff
	v_lshrrev_b32_e32 v19, 16, v19
	v_lshrrev_b32_e32 v11, 16, v11
	;; [unrolled: 1-line block ×4, first 2 shown]
	v_cmp_o_f32_e64 s5, v16, v16
	v_cmp_o_f32_e64 s6, v12, v12
	v_cndmask_b32_e64 v11, 0x7fc0, v11, s2
	v_cmp_o_f32_e64 s2, v14, v14
	v_lshrrev_b32_e32 v14, 16, v20
	v_cndmask_b32_e64 v12, 0x7fc0, v13, s4
	v_mov_b32_e32 v13, 0xffffff80
	v_cndmask_b32_e64 v15, 0x7fc0, v19, s6
	v_cndmask_b32_e64 v10, 0x7fc0, v10, s2
	;; [unrolled: 1-line block ×5, first 2 shown]
	s_delay_alu instid0(VALU_DEP_4) | instskip(NEXT) | instid1(VALU_DEP_4)
	v_perm_b32 v11, v10, v11, 0x5040100
	v_perm_b32 v12, v14, v12, 0x5040100
	;; [unrolled: 1-line block ×4, first 2 shown]
	v_add_nc_u32_e32 v0, v13, v0
	v_wmma_f32_16x16x16_bf16 v[1:8], v[153:160], v[129:136], v[1:8]
	buffer_store_b128 v[9:12], v0, s[24:27], 0 offen
	s_waitcnt lgkmcnt(0)
	s_waitcnt_vscnt null, 0x0
	s_barrier
	ds_store_2addr_b32 v201, v1, v2 offset1:32
	ds_store_2addr_b32 v201, v3, v4 offset0:64 offset1:96
	ds_store_2addr_b32 v201, v5, v6 offset0:128 offset1:160
	;; [unrolled: 1-line block ×3, first 2 shown]
	s_waitcnt lgkmcnt(0)
	s_barrier
	ds_load_b128 v[0:3], v59
	ds_load_b128 v[4:7], v59 offset:16
	v_add_nc_u32_e32 v11, s8, v57
	s_waitcnt lgkmcnt(1)
	v_bfe_u32 v8, v0, 16, 1
	v_bfe_u32 v9, v1, 16, 1
	;; [unrolled: 1-line block ×3, first 2 shown]
	v_cmp_o_f32_e64 s0, v0, v0
	v_cmp_o_f32_e64 s2, v2, v2
	v_add3_u32 v8, v0, v8, 0x7fff
	v_add3_u32 v9, v1, v9, 0x7fff
	;; [unrolled: 1-line block ×3, first 2 shown]
	v_bfe_u32 v2, v3, 16, 1
	s_waitcnt lgkmcnt(0)
	v_bfe_u32 v12, v6, 16, 1
	v_lshrrev_b32_e32 v8, 16, v8
	v_lshrrev_b32_e32 v0, 16, v9
	;; [unrolled: 1-line block ×3, first 2 shown]
	v_bfe_u32 v10, v5, 16, 1
	v_bfe_u32 v13, v7, 16, 1
	v_cndmask_b32_e64 v8, 0x7fc0, v8, s0
	v_cmp_o_f32_e64 s0, v1, v1
	v_bfe_u32 v1, v4, 16, 1
	v_add3_u32 v2, v3, v2, 0x7fff
	v_add3_u32 v10, v5, v10, 0x7fff
	;; [unrolled: 1-line block ×5, first 2 shown]
	v_cndmask_b32_e64 v9, 0x7fc0, v9, s2
	v_lshrrev_b32_e32 v2, 16, v2
	v_lshrrev_b32_e32 v10, 16, v10
	v_cmp_o_f32_e64 s2, v4, v4
	v_lshrrev_b32_e32 v1, 16, v1
	v_lshrrev_b32_e32 v4, 16, v12
	;; [unrolled: 1-line block ×3, first 2 shown]
	v_cmp_o_f32_e64 s3, v5, v5
	v_cmp_o_f32_e64 s4, v6, v6
	;; [unrolled: 1-line block ×4, first 2 shown]
	v_cndmask_b32_e64 v1, 0x7fc0, v1, s2
	v_cndmask_b32_e64 v5, 0x7fc0, v10, s3
	;; [unrolled: 1-line block ×7, first 2 shown]
	v_perm_b32 v2, v5, v1, 0x5040100
	v_perm_b32 v3, v4, v3, 0x5040100
	;; [unrolled: 1-line block ×4, first 2 shown]
	v_lshl_add_u32 v4, v11, 1, v7
	buffer_store_b128 v[0:3], v4, s[24:27], 0 offen
	s_nop 0
	s_sendmsg sendmsg(MSG_DEALLOC_VGPRS)
	s_endpgm
	.section	.rodata,"a",@progbits
	.p2align	6, 0x0
	.amdhsa_kernel _ZN2ck16kernel_gemm_wmmaINS_17GridwiseGemm_WmmaILi128EttfftLNS_25InMemoryDataOperationEnumE0ENS_16TensorDescriptorINS_5TupleIJNS_5EmbedINS4_IJiiEEENS4_IJiNS_17integral_constantIiLi1EEEEEELb0EEENS_8RightPadIiiLb0EEESC_NS_7UnMergeINS4_IJiNS7_IiLi2EEEEEELb0EEENS_11PassThroughIiEEEEENS4_IJNS_8SequenceIJLi0EEEENSK_IJLi1EEEENSK_IJLi2EEEENSK_IJLi4EEEENSK_IJLi3EEEEEEENS4_IJNSK_IJLi1ELi2EEEESP_SO_NSK_IJLi5ELi6EEEENSK_IJLi7EEEEEEENSK_IJLi5ELi7ELi6EEEElEESW_NS3_INS4_IJSA_SC_SC_EEENS4_IJSL_SM_SN_EEENS4_IJSR_SP_SO_EEENSK_IJLi3ELi4EEEElEENS_16tensor_operation12element_wise11PassThroughES14_S14_Li64ELi128ELi64ELi16ELi16ELi2ELi2ELi4ENSK_IJLi4ELi32ELi1EEEENSK_IJLi1ELi0ELi2EEEES16_Li2ELi2ELi2ELb0ELb1ELb1ES15_S16_S16_Li2ELi2ELi2ELb0ELb1ELb1ELi1ELi1ENSK_IJLi1ELi32ELi1ELi4EEEELi8ELi1ELNS_13LoopSchedulerE0ELNS_15PipelineVersionE0EEEtttSW_SW_NS3_INS4_IJSA_SC_SC_NSD_INS4_IJiNS7_IiLi64EEEEEELb0EEENSD_INS4_IJiNS7_IiLi128EEEEEELb0EEEEEENS4_IJSL_SM_SN_SP_SO_EEENS4_IJSR_SP_SO_SS_NSK_IJLi7ELi8EEEEEEENSK_IJLi5ELi6ELi7ELi8EEEElEES14_S14_S14_NS_31BlockToCTileMap_M00_N0_M01AdaptILi64ELi128ES11_iEELb1EEEvPKT0_PKT1_PT2_T3_T4_T5_T6_T7_T8_T9_
		.amdhsa_group_segment_fixed_size 24824
		.amdhsa_private_segment_fixed_size 0
		.amdhsa_kernarg_size 264
		.amdhsa_user_sgpr_count 15
		.amdhsa_user_sgpr_dispatch_ptr 0
		.amdhsa_user_sgpr_queue_ptr 0
		.amdhsa_user_sgpr_kernarg_segment_ptr 1
		.amdhsa_user_sgpr_dispatch_id 0
		.amdhsa_user_sgpr_private_segment_size 0
		.amdhsa_wavefront_size32 1
		.amdhsa_uses_dynamic_stack 0
		.amdhsa_enable_private_segment 0
		.amdhsa_system_sgpr_workgroup_id_x 1
		.amdhsa_system_sgpr_workgroup_id_y 0
		.amdhsa_system_sgpr_workgroup_id_z 0
		.amdhsa_system_sgpr_workgroup_info 0
		.amdhsa_system_vgpr_workitem_id 0
		.amdhsa_next_free_vgpr 217
		.amdhsa_next_free_sgpr 43
		.amdhsa_reserve_vcc 1
		.amdhsa_float_round_mode_32 0
		.amdhsa_float_round_mode_16_64 0
		.amdhsa_float_denorm_mode_32 3
		.amdhsa_float_denorm_mode_16_64 3
		.amdhsa_dx10_clamp 1
		.amdhsa_ieee_mode 1
		.amdhsa_fp16_overflow 0
		.amdhsa_workgroup_processor_mode 1
		.amdhsa_memory_ordered 1
		.amdhsa_forward_progress 0
		.amdhsa_shared_vgpr_count 0
		.amdhsa_exception_fp_ieee_invalid_op 0
		.amdhsa_exception_fp_denorm_src 0
		.amdhsa_exception_fp_ieee_div_zero 0
		.amdhsa_exception_fp_ieee_overflow 0
		.amdhsa_exception_fp_ieee_underflow 0
		.amdhsa_exception_fp_ieee_inexact 0
		.amdhsa_exception_int_div_zero 0
	.end_amdhsa_kernel
	.section	.text._ZN2ck16kernel_gemm_wmmaINS_17GridwiseGemm_WmmaILi128EttfftLNS_25InMemoryDataOperationEnumE0ENS_16TensorDescriptorINS_5TupleIJNS_5EmbedINS4_IJiiEEENS4_IJiNS_17integral_constantIiLi1EEEEEELb0EEENS_8RightPadIiiLb0EEESC_NS_7UnMergeINS4_IJiNS7_IiLi2EEEEEELb0EEENS_11PassThroughIiEEEEENS4_IJNS_8SequenceIJLi0EEEENSK_IJLi1EEEENSK_IJLi2EEEENSK_IJLi4EEEENSK_IJLi3EEEEEEENS4_IJNSK_IJLi1ELi2EEEESP_SO_NSK_IJLi5ELi6EEEENSK_IJLi7EEEEEEENSK_IJLi5ELi7ELi6EEEElEESW_NS3_INS4_IJSA_SC_SC_EEENS4_IJSL_SM_SN_EEENS4_IJSR_SP_SO_EEENSK_IJLi3ELi4EEEElEENS_16tensor_operation12element_wise11PassThroughES14_S14_Li64ELi128ELi64ELi16ELi16ELi2ELi2ELi4ENSK_IJLi4ELi32ELi1EEEENSK_IJLi1ELi0ELi2EEEES16_Li2ELi2ELi2ELb0ELb1ELb1ES15_S16_S16_Li2ELi2ELi2ELb0ELb1ELb1ELi1ELi1ENSK_IJLi1ELi32ELi1ELi4EEEELi8ELi1ELNS_13LoopSchedulerE0ELNS_15PipelineVersionE0EEEtttSW_SW_NS3_INS4_IJSA_SC_SC_NSD_INS4_IJiNS7_IiLi64EEEEEELb0EEENSD_INS4_IJiNS7_IiLi128EEEEEELb0EEEEEENS4_IJSL_SM_SN_SP_SO_EEENS4_IJSR_SP_SO_SS_NSK_IJLi7ELi8EEEEEEENSK_IJLi5ELi6ELi7ELi8EEEElEES14_S14_S14_NS_31BlockToCTileMap_M00_N0_M01AdaptILi64ELi128ES11_iEELb1EEEvPKT0_PKT1_PT2_T3_T4_T5_T6_T7_T8_T9_,"axG",@progbits,_ZN2ck16kernel_gemm_wmmaINS_17GridwiseGemm_WmmaILi128EttfftLNS_25InMemoryDataOperationEnumE0ENS_16TensorDescriptorINS_5TupleIJNS_5EmbedINS4_IJiiEEENS4_IJiNS_17integral_constantIiLi1EEEEEELb0EEENS_8RightPadIiiLb0EEESC_NS_7UnMergeINS4_IJiNS7_IiLi2EEEEEELb0EEENS_11PassThroughIiEEEEENS4_IJNS_8SequenceIJLi0EEEENSK_IJLi1EEEENSK_IJLi2EEEENSK_IJLi4EEEENSK_IJLi3EEEEEEENS4_IJNSK_IJLi1ELi2EEEESP_SO_NSK_IJLi5ELi6EEEENSK_IJLi7EEEEEEENSK_IJLi5ELi7ELi6EEEElEESW_NS3_INS4_IJSA_SC_SC_EEENS4_IJSL_SM_SN_EEENS4_IJSR_SP_SO_EEENSK_IJLi3ELi4EEEElEENS_16tensor_operation12element_wise11PassThroughES14_S14_Li64ELi128ELi64ELi16ELi16ELi2ELi2ELi4ENSK_IJLi4ELi32ELi1EEEENSK_IJLi1ELi0ELi2EEEES16_Li2ELi2ELi2ELb0ELb1ELb1ES15_S16_S16_Li2ELi2ELi2ELb0ELb1ELb1ELi1ELi1ENSK_IJLi1ELi32ELi1ELi4EEEELi8ELi1ELNS_13LoopSchedulerE0ELNS_15PipelineVersionE0EEEtttSW_SW_NS3_INS4_IJSA_SC_SC_NSD_INS4_IJiNS7_IiLi64EEEEEELb0EEENSD_INS4_IJiNS7_IiLi128EEEEEELb0EEEEEENS4_IJSL_SM_SN_SP_SO_EEENS4_IJSR_SP_SO_SS_NSK_IJLi7ELi8EEEEEEENSK_IJLi5ELi6ELi7ELi8EEEElEES14_S14_S14_NS_31BlockToCTileMap_M00_N0_M01AdaptILi64ELi128ES11_iEELb1EEEvPKT0_PKT1_PT2_T3_T4_T5_T6_T7_T8_T9_,comdat
.Lfunc_end1:
	.size	_ZN2ck16kernel_gemm_wmmaINS_17GridwiseGemm_WmmaILi128EttfftLNS_25InMemoryDataOperationEnumE0ENS_16TensorDescriptorINS_5TupleIJNS_5EmbedINS4_IJiiEEENS4_IJiNS_17integral_constantIiLi1EEEEEELb0EEENS_8RightPadIiiLb0EEESC_NS_7UnMergeINS4_IJiNS7_IiLi2EEEEEELb0EEENS_11PassThroughIiEEEEENS4_IJNS_8SequenceIJLi0EEEENSK_IJLi1EEEENSK_IJLi2EEEENSK_IJLi4EEEENSK_IJLi3EEEEEEENS4_IJNSK_IJLi1ELi2EEEESP_SO_NSK_IJLi5ELi6EEEENSK_IJLi7EEEEEEENSK_IJLi5ELi7ELi6EEEElEESW_NS3_INS4_IJSA_SC_SC_EEENS4_IJSL_SM_SN_EEENS4_IJSR_SP_SO_EEENSK_IJLi3ELi4EEEElEENS_16tensor_operation12element_wise11PassThroughES14_S14_Li64ELi128ELi64ELi16ELi16ELi2ELi2ELi4ENSK_IJLi4ELi32ELi1EEEENSK_IJLi1ELi0ELi2EEEES16_Li2ELi2ELi2ELb0ELb1ELb1ES15_S16_S16_Li2ELi2ELi2ELb0ELb1ELb1ELi1ELi1ENSK_IJLi1ELi32ELi1ELi4EEEELi8ELi1ELNS_13LoopSchedulerE0ELNS_15PipelineVersionE0EEEtttSW_SW_NS3_INS4_IJSA_SC_SC_NSD_INS4_IJiNS7_IiLi64EEEEEELb0EEENSD_INS4_IJiNS7_IiLi128EEEEEELb0EEEEEENS4_IJSL_SM_SN_SP_SO_EEENS4_IJSR_SP_SO_SS_NSK_IJLi7ELi8EEEEEEENSK_IJLi5ELi6ELi7ELi8EEEElEES14_S14_S14_NS_31BlockToCTileMap_M00_N0_M01AdaptILi64ELi128ES11_iEELb1EEEvPKT0_PKT1_PT2_T3_T4_T5_T6_T7_T8_T9_, .Lfunc_end1-_ZN2ck16kernel_gemm_wmmaINS_17GridwiseGemm_WmmaILi128EttfftLNS_25InMemoryDataOperationEnumE0ENS_16TensorDescriptorINS_5TupleIJNS_5EmbedINS4_IJiiEEENS4_IJiNS_17integral_constantIiLi1EEEEEELb0EEENS_8RightPadIiiLb0EEESC_NS_7UnMergeINS4_IJiNS7_IiLi2EEEEEELb0EEENS_11PassThroughIiEEEEENS4_IJNS_8SequenceIJLi0EEEENSK_IJLi1EEEENSK_IJLi2EEEENSK_IJLi4EEEENSK_IJLi3EEEEEEENS4_IJNSK_IJLi1ELi2EEEESP_SO_NSK_IJLi5ELi6EEEENSK_IJLi7EEEEEEENSK_IJLi5ELi7ELi6EEEElEESW_NS3_INS4_IJSA_SC_SC_EEENS4_IJSL_SM_SN_EEENS4_IJSR_SP_SO_EEENSK_IJLi3ELi4EEEElEENS_16tensor_operation12element_wise11PassThroughES14_S14_Li64ELi128ELi64ELi16ELi16ELi2ELi2ELi4ENSK_IJLi4ELi32ELi1EEEENSK_IJLi1ELi0ELi2EEEES16_Li2ELi2ELi2ELb0ELb1ELb1ES15_S16_S16_Li2ELi2ELi2ELb0ELb1ELb1ELi1ELi1ENSK_IJLi1ELi32ELi1ELi4EEEELi8ELi1ELNS_13LoopSchedulerE0ELNS_15PipelineVersionE0EEEtttSW_SW_NS3_INS4_IJSA_SC_SC_NSD_INS4_IJiNS7_IiLi64EEEEEELb0EEENSD_INS4_IJiNS7_IiLi128EEEEEELb0EEEEEENS4_IJSL_SM_SN_SP_SO_EEENS4_IJSR_SP_SO_SS_NSK_IJLi7ELi8EEEEEEENSK_IJLi5ELi6ELi7ELi8EEEElEES14_S14_S14_NS_31BlockToCTileMap_M00_N0_M01AdaptILi64ELi128ES11_iEELb1EEEvPKT0_PKT1_PT2_T3_T4_T5_T6_T7_T8_T9_
                                        ; -- End function
	.section	.AMDGPU.csdata,"",@progbits
; Kernel info:
; codeLenInByte = 12524
; NumSgprs: 45
; NumVgprs: 217
; ScratchSize: 0
; MemoryBound: 0
; FloatMode: 240
; IeeeMode: 1
; LDSByteSize: 24824 bytes/workgroup (compile time only)
; SGPRBlocks: 5
; VGPRBlocks: 27
; NumSGPRsForWavesPerEU: 45
; NumVGPRsForWavesPerEU: 217
; Occupancy: 6
; WaveLimiterHint : 0
; COMPUTE_PGM_RSRC2:SCRATCH_EN: 0
; COMPUTE_PGM_RSRC2:USER_SGPR: 15
; COMPUTE_PGM_RSRC2:TRAP_HANDLER: 0
; COMPUTE_PGM_RSRC2:TGID_X_EN: 1
; COMPUTE_PGM_RSRC2:TGID_Y_EN: 0
; COMPUTE_PGM_RSRC2:TGID_Z_EN: 0
; COMPUTE_PGM_RSRC2:TIDIG_COMP_CNT: 0
	.section	.text._ZN2ck16kernel_gemm_wmmaINS_17GridwiseGemm_WmmaILi128EttfftLNS_25InMemoryDataOperationEnumE0ENS_16TensorDescriptorINS_5TupleIJNS_5EmbedINS4_IJiiEEENS4_IJiNS_17integral_constantIiLi1EEEEEELb0EEENS_8RightPadIiiLb0EEESC_NS_7UnMergeINS4_IJiNS7_IiLi2EEEEEELb0EEENS_11PassThroughIiEEEEENS4_IJNS_8SequenceIJLi0EEEENSK_IJLi1EEEENSK_IJLi2EEEENSK_IJLi4EEEENSK_IJLi3EEEEEEENS4_IJNSK_IJLi1ELi2EEEESP_SO_NSK_IJLi5ELi6EEEENSK_IJLi7EEEEEEENSK_IJLi5ELi7ELi6EEEElEESW_NS3_INS4_IJSA_SC_SC_EEENS4_IJSL_SM_SN_EEENS4_IJSR_SP_SO_EEENSK_IJLi3ELi4EEEElEENS_16tensor_operation12element_wise11PassThroughES14_S14_Li64ELi128ELi64ELi16ELi16ELi2ELi2ELi4ENSK_IJLi4ELi32ELi1EEEENSK_IJLi1ELi0ELi2EEEES16_Li2ELi2ELi2ELb0ELb1ELb1ES15_S16_S16_Li2ELi2ELi2ELb0ELb1ELb1ELi1ELi1ENSK_IJLi1ELi32ELi1ELi4EEEELi8ELi1ELNS_13LoopSchedulerE0ELNS_15PipelineVersionE0EEEtttSW_SW_NS3_INS4_IJSA_SC_SC_NSD_INS4_IJiNS7_IiLi64EEEEEELb0EEENSD_INS4_IJiNS7_IiLi128EEEEEELb0EEEEEENS4_IJSL_SM_SN_SP_SO_EEENS4_IJSR_SP_SO_SS_NSK_IJLi7ELi8EEEEEEENSK_IJLi5ELi6ELi7ELi8EEEElEES14_S14_S14_NS_31BlockToCTileMap_M00_N0_M01AdaptILi64ELi128ES11_iEELb0EEEvPKT0_PKT1_PT2_T3_T4_T5_T6_T7_T8_T9_,"axG",@progbits,_ZN2ck16kernel_gemm_wmmaINS_17GridwiseGemm_WmmaILi128EttfftLNS_25InMemoryDataOperationEnumE0ENS_16TensorDescriptorINS_5TupleIJNS_5EmbedINS4_IJiiEEENS4_IJiNS_17integral_constantIiLi1EEEEEELb0EEENS_8RightPadIiiLb0EEESC_NS_7UnMergeINS4_IJiNS7_IiLi2EEEEEELb0EEENS_11PassThroughIiEEEEENS4_IJNS_8SequenceIJLi0EEEENSK_IJLi1EEEENSK_IJLi2EEEENSK_IJLi4EEEENSK_IJLi3EEEEEEENS4_IJNSK_IJLi1ELi2EEEESP_SO_NSK_IJLi5ELi6EEEENSK_IJLi7EEEEEEENSK_IJLi5ELi7ELi6EEEElEESW_NS3_INS4_IJSA_SC_SC_EEENS4_IJSL_SM_SN_EEENS4_IJSR_SP_SO_EEENSK_IJLi3ELi4EEEElEENS_16tensor_operation12element_wise11PassThroughES14_S14_Li64ELi128ELi64ELi16ELi16ELi2ELi2ELi4ENSK_IJLi4ELi32ELi1EEEENSK_IJLi1ELi0ELi2EEEES16_Li2ELi2ELi2ELb0ELb1ELb1ES15_S16_S16_Li2ELi2ELi2ELb0ELb1ELb1ELi1ELi1ENSK_IJLi1ELi32ELi1ELi4EEEELi8ELi1ELNS_13LoopSchedulerE0ELNS_15PipelineVersionE0EEEtttSW_SW_NS3_INS4_IJSA_SC_SC_NSD_INS4_IJiNS7_IiLi64EEEEEELb0EEENSD_INS4_IJiNS7_IiLi128EEEEEELb0EEEEEENS4_IJSL_SM_SN_SP_SO_EEENS4_IJSR_SP_SO_SS_NSK_IJLi7ELi8EEEEEEENSK_IJLi5ELi6ELi7ELi8EEEElEES14_S14_S14_NS_31BlockToCTileMap_M00_N0_M01AdaptILi64ELi128ES11_iEELb0EEEvPKT0_PKT1_PT2_T3_T4_T5_T6_T7_T8_T9_,comdat
	.protected	_ZN2ck16kernel_gemm_wmmaINS_17GridwiseGemm_WmmaILi128EttfftLNS_25InMemoryDataOperationEnumE0ENS_16TensorDescriptorINS_5TupleIJNS_5EmbedINS4_IJiiEEENS4_IJiNS_17integral_constantIiLi1EEEEEELb0EEENS_8RightPadIiiLb0EEESC_NS_7UnMergeINS4_IJiNS7_IiLi2EEEEEELb0EEENS_11PassThroughIiEEEEENS4_IJNS_8SequenceIJLi0EEEENSK_IJLi1EEEENSK_IJLi2EEEENSK_IJLi4EEEENSK_IJLi3EEEEEEENS4_IJNSK_IJLi1ELi2EEEESP_SO_NSK_IJLi5ELi6EEEENSK_IJLi7EEEEEEENSK_IJLi5ELi7ELi6EEEElEESW_NS3_INS4_IJSA_SC_SC_EEENS4_IJSL_SM_SN_EEENS4_IJSR_SP_SO_EEENSK_IJLi3ELi4EEEElEENS_16tensor_operation12element_wise11PassThroughES14_S14_Li64ELi128ELi64ELi16ELi16ELi2ELi2ELi4ENSK_IJLi4ELi32ELi1EEEENSK_IJLi1ELi0ELi2EEEES16_Li2ELi2ELi2ELb0ELb1ELb1ES15_S16_S16_Li2ELi2ELi2ELb0ELb1ELb1ELi1ELi1ENSK_IJLi1ELi32ELi1ELi4EEEELi8ELi1ELNS_13LoopSchedulerE0ELNS_15PipelineVersionE0EEEtttSW_SW_NS3_INS4_IJSA_SC_SC_NSD_INS4_IJiNS7_IiLi64EEEEEELb0EEENSD_INS4_IJiNS7_IiLi128EEEEEELb0EEEEEENS4_IJSL_SM_SN_SP_SO_EEENS4_IJSR_SP_SO_SS_NSK_IJLi7ELi8EEEEEEENSK_IJLi5ELi6ELi7ELi8EEEElEES14_S14_S14_NS_31BlockToCTileMap_M00_N0_M01AdaptILi64ELi128ES11_iEELb0EEEvPKT0_PKT1_PT2_T3_T4_T5_T6_T7_T8_T9_ ; -- Begin function _ZN2ck16kernel_gemm_wmmaINS_17GridwiseGemm_WmmaILi128EttfftLNS_25InMemoryDataOperationEnumE0ENS_16TensorDescriptorINS_5TupleIJNS_5EmbedINS4_IJiiEEENS4_IJiNS_17integral_constantIiLi1EEEEEELb0EEENS_8RightPadIiiLb0EEESC_NS_7UnMergeINS4_IJiNS7_IiLi2EEEEEELb0EEENS_11PassThroughIiEEEEENS4_IJNS_8SequenceIJLi0EEEENSK_IJLi1EEEENSK_IJLi2EEEENSK_IJLi4EEEENSK_IJLi3EEEEEEENS4_IJNSK_IJLi1ELi2EEEESP_SO_NSK_IJLi5ELi6EEEENSK_IJLi7EEEEEEENSK_IJLi5ELi7ELi6EEEElEESW_NS3_INS4_IJSA_SC_SC_EEENS4_IJSL_SM_SN_EEENS4_IJSR_SP_SO_EEENSK_IJLi3ELi4EEEElEENS_16tensor_operation12element_wise11PassThroughES14_S14_Li64ELi128ELi64ELi16ELi16ELi2ELi2ELi4ENSK_IJLi4ELi32ELi1EEEENSK_IJLi1ELi0ELi2EEEES16_Li2ELi2ELi2ELb0ELb1ELb1ES15_S16_S16_Li2ELi2ELi2ELb0ELb1ELb1ELi1ELi1ENSK_IJLi1ELi32ELi1ELi4EEEELi8ELi1ELNS_13LoopSchedulerE0ELNS_15PipelineVersionE0EEEtttSW_SW_NS3_INS4_IJSA_SC_SC_NSD_INS4_IJiNS7_IiLi64EEEEEELb0EEENSD_INS4_IJiNS7_IiLi128EEEEEELb0EEEEEENS4_IJSL_SM_SN_SP_SO_EEENS4_IJSR_SP_SO_SS_NSK_IJLi7ELi8EEEEEEENSK_IJLi5ELi6ELi7ELi8EEEElEES14_S14_S14_NS_31BlockToCTileMap_M00_N0_M01AdaptILi64ELi128ES11_iEELb0EEEvPKT0_PKT1_PT2_T3_T4_T5_T6_T7_T8_T9_
	.globl	_ZN2ck16kernel_gemm_wmmaINS_17GridwiseGemm_WmmaILi128EttfftLNS_25InMemoryDataOperationEnumE0ENS_16TensorDescriptorINS_5TupleIJNS_5EmbedINS4_IJiiEEENS4_IJiNS_17integral_constantIiLi1EEEEEELb0EEENS_8RightPadIiiLb0EEESC_NS_7UnMergeINS4_IJiNS7_IiLi2EEEEEELb0EEENS_11PassThroughIiEEEEENS4_IJNS_8SequenceIJLi0EEEENSK_IJLi1EEEENSK_IJLi2EEEENSK_IJLi4EEEENSK_IJLi3EEEEEEENS4_IJNSK_IJLi1ELi2EEEESP_SO_NSK_IJLi5ELi6EEEENSK_IJLi7EEEEEEENSK_IJLi5ELi7ELi6EEEElEESW_NS3_INS4_IJSA_SC_SC_EEENS4_IJSL_SM_SN_EEENS4_IJSR_SP_SO_EEENSK_IJLi3ELi4EEEElEENS_16tensor_operation12element_wise11PassThroughES14_S14_Li64ELi128ELi64ELi16ELi16ELi2ELi2ELi4ENSK_IJLi4ELi32ELi1EEEENSK_IJLi1ELi0ELi2EEEES16_Li2ELi2ELi2ELb0ELb1ELb1ES15_S16_S16_Li2ELi2ELi2ELb0ELb1ELb1ELi1ELi1ENSK_IJLi1ELi32ELi1ELi4EEEELi8ELi1ELNS_13LoopSchedulerE0ELNS_15PipelineVersionE0EEEtttSW_SW_NS3_INS4_IJSA_SC_SC_NSD_INS4_IJiNS7_IiLi64EEEEEELb0EEENSD_INS4_IJiNS7_IiLi128EEEEEELb0EEEEEENS4_IJSL_SM_SN_SP_SO_EEENS4_IJSR_SP_SO_SS_NSK_IJLi7ELi8EEEEEEENSK_IJLi5ELi6ELi7ELi8EEEElEES14_S14_S14_NS_31BlockToCTileMap_M00_N0_M01AdaptILi64ELi128ES11_iEELb0EEEvPKT0_PKT1_PT2_T3_T4_T5_T6_T7_T8_T9_
	.p2align	8
	.type	_ZN2ck16kernel_gemm_wmmaINS_17GridwiseGemm_WmmaILi128EttfftLNS_25InMemoryDataOperationEnumE0ENS_16TensorDescriptorINS_5TupleIJNS_5EmbedINS4_IJiiEEENS4_IJiNS_17integral_constantIiLi1EEEEEELb0EEENS_8RightPadIiiLb0EEESC_NS_7UnMergeINS4_IJiNS7_IiLi2EEEEEELb0EEENS_11PassThroughIiEEEEENS4_IJNS_8SequenceIJLi0EEEENSK_IJLi1EEEENSK_IJLi2EEEENSK_IJLi4EEEENSK_IJLi3EEEEEEENS4_IJNSK_IJLi1ELi2EEEESP_SO_NSK_IJLi5ELi6EEEENSK_IJLi7EEEEEEENSK_IJLi5ELi7ELi6EEEElEESW_NS3_INS4_IJSA_SC_SC_EEENS4_IJSL_SM_SN_EEENS4_IJSR_SP_SO_EEENSK_IJLi3ELi4EEEElEENS_16tensor_operation12element_wise11PassThroughES14_S14_Li64ELi128ELi64ELi16ELi16ELi2ELi2ELi4ENSK_IJLi4ELi32ELi1EEEENSK_IJLi1ELi0ELi2EEEES16_Li2ELi2ELi2ELb0ELb1ELb1ES15_S16_S16_Li2ELi2ELi2ELb0ELb1ELb1ELi1ELi1ENSK_IJLi1ELi32ELi1ELi4EEEELi8ELi1ELNS_13LoopSchedulerE0ELNS_15PipelineVersionE0EEEtttSW_SW_NS3_INS4_IJSA_SC_SC_NSD_INS4_IJiNS7_IiLi64EEEEEELb0EEENSD_INS4_IJiNS7_IiLi128EEEEEELb0EEEEEENS4_IJSL_SM_SN_SP_SO_EEENS4_IJSR_SP_SO_SS_NSK_IJLi7ELi8EEEEEEENSK_IJLi5ELi6ELi7ELi8EEEElEES14_S14_S14_NS_31BlockToCTileMap_M00_N0_M01AdaptILi64ELi128ES11_iEELb0EEEvPKT0_PKT1_PT2_T3_T4_T5_T6_T7_T8_T9_,@function
_ZN2ck16kernel_gemm_wmmaINS_17GridwiseGemm_WmmaILi128EttfftLNS_25InMemoryDataOperationEnumE0ENS_16TensorDescriptorINS_5TupleIJNS_5EmbedINS4_IJiiEEENS4_IJiNS_17integral_constantIiLi1EEEEEELb0EEENS_8RightPadIiiLb0EEESC_NS_7UnMergeINS4_IJiNS7_IiLi2EEEEEELb0EEENS_11PassThroughIiEEEEENS4_IJNS_8SequenceIJLi0EEEENSK_IJLi1EEEENSK_IJLi2EEEENSK_IJLi4EEEENSK_IJLi3EEEEEEENS4_IJNSK_IJLi1ELi2EEEESP_SO_NSK_IJLi5ELi6EEEENSK_IJLi7EEEEEEENSK_IJLi5ELi7ELi6EEEElEESW_NS3_INS4_IJSA_SC_SC_EEENS4_IJSL_SM_SN_EEENS4_IJSR_SP_SO_EEENSK_IJLi3ELi4EEEElEENS_16tensor_operation12element_wise11PassThroughES14_S14_Li64ELi128ELi64ELi16ELi16ELi2ELi2ELi4ENSK_IJLi4ELi32ELi1EEEENSK_IJLi1ELi0ELi2EEEES16_Li2ELi2ELi2ELb0ELb1ELb1ES15_S16_S16_Li2ELi2ELi2ELb0ELb1ELb1ELi1ELi1ENSK_IJLi1ELi32ELi1ELi4EEEELi8ELi1ELNS_13LoopSchedulerE0ELNS_15PipelineVersionE0EEEtttSW_SW_NS3_INS4_IJSA_SC_SC_NSD_INS4_IJiNS7_IiLi64EEEEEELb0EEENSD_INS4_IJiNS7_IiLi128EEEEEELb0EEEEEENS4_IJSL_SM_SN_SP_SO_EEENS4_IJSR_SP_SO_SS_NSK_IJLi7ELi8EEEEEEENSK_IJLi5ELi6ELi7ELi8EEEElEES14_S14_S14_NS_31BlockToCTileMap_M00_N0_M01AdaptILi64ELi128ES11_iEELb0EEEvPKT0_PKT1_PT2_T3_T4_T5_T6_T7_T8_T9_: ; @_ZN2ck16kernel_gemm_wmmaINS_17GridwiseGemm_WmmaILi128EttfftLNS_25InMemoryDataOperationEnumE0ENS_16TensorDescriptorINS_5TupleIJNS_5EmbedINS4_IJiiEEENS4_IJiNS_17integral_constantIiLi1EEEEEELb0EEENS_8RightPadIiiLb0EEESC_NS_7UnMergeINS4_IJiNS7_IiLi2EEEEEELb0EEENS_11PassThroughIiEEEEENS4_IJNS_8SequenceIJLi0EEEENSK_IJLi1EEEENSK_IJLi2EEEENSK_IJLi4EEEENSK_IJLi3EEEEEEENS4_IJNSK_IJLi1ELi2EEEESP_SO_NSK_IJLi5ELi6EEEENSK_IJLi7EEEEEEENSK_IJLi5ELi7ELi6EEEElEESW_NS3_INS4_IJSA_SC_SC_EEENS4_IJSL_SM_SN_EEENS4_IJSR_SP_SO_EEENSK_IJLi3ELi4EEEElEENS_16tensor_operation12element_wise11PassThroughES14_S14_Li64ELi128ELi64ELi16ELi16ELi2ELi2ELi4ENSK_IJLi4ELi32ELi1EEEENSK_IJLi1ELi0ELi2EEEES16_Li2ELi2ELi2ELb0ELb1ELb1ES15_S16_S16_Li2ELi2ELi2ELb0ELb1ELb1ELi1ELi1ENSK_IJLi1ELi32ELi1ELi4EEEELi8ELi1ELNS_13LoopSchedulerE0ELNS_15PipelineVersionE0EEEtttSW_SW_NS3_INS4_IJSA_SC_SC_NSD_INS4_IJiNS7_IiLi64EEEEEELb0EEENSD_INS4_IJiNS7_IiLi128EEEEEELb0EEEEEENS4_IJSL_SM_SN_SP_SO_EEENS4_IJSR_SP_SO_SS_NSK_IJLi7ELi8EEEEEEENSK_IJLi5ELi6ELi7ELi8EEEElEES14_S14_S14_NS_31BlockToCTileMap_M00_N0_M01AdaptILi64ELi128ES11_iEELb0EEEvPKT0_PKT1_PT2_T3_T4_T5_T6_T7_T8_T9_
; %bb.0:
	s_clause 0x1
	s_load_b64 s[2:3], s[0:1], 0xfc
	s_load_b32 s9, s[0:1], 0x104
	v_lshlrev_b32_e32 v23, 3, v0
	s_abs_i32 s8, s15
	v_and_b32_e32 v24, 0xfc, v0
	v_lshrrev_b32_e32 v52, 1, v0
	s_mov_b32 s51, 0x31004000
	v_bfe_u32 v57, v0, 1, 3
	v_and_b32_e32 v58, 32, v0
	v_and_b32_e32 v59, 0xc0, v0
	;; [unrolled: 1-line block ×4, first 2 shown]
	s_delay_alu instid0(VALU_DEP_1)
	v_mul_u32_u24_e32 v60, 0x102, v50
	v_lshlrev_b32_e32 v22, 1, v50
	s_waitcnt lgkmcnt(0)
	s_add_i32 s2, s2, 63
	s_addk_i32 s3, 0x7f
	s_ashr_i32 s4, s2, 31
	s_ashr_i32 s5, s3, 31
	s_lshr_b32 s4, s4, 26
	s_lshr_b32 s5, s5, 25
	s_add_i32 s2, s2, s4
	s_add_i32 s3, s3, s5
	s_ashr_i32 s4, s2, 6
	s_ashr_i32 s3, s3, 7
	v_or_b32_e32 v61, 8, v22
	s_mul_i32 s5, s3, s4
	v_or_b32_e32 v62, 10, v22
	s_abs_i32 s5, s5
	v_or_b32_e32 v63, 12, v22
	v_cvt_f32_u32_e32 v1, s5
	s_sub_i32 s7, 0, s5
	v_or_b32_e32 v64, 14, v22
	s_delay_alu instid0(VALU_DEP_2) | instskip(SKIP_2) | instid1(VALU_DEP_1)
	v_rcp_iflag_f32_e32 v1, v1
	s_waitcnt_depctr 0xfff
	v_mul_f32_e32 v1, 0x4f7ffffe, v1
	v_cvt_u32_f32_e32 v1, v1
	s_delay_alu instid0(VALU_DEP_1) | instskip(NEXT) | instid1(VALU_DEP_1)
	v_readfirstlane_b32 s6, v1
	s_mul_i32 s7, s7, s6
	s_delay_alu instid0(SALU_CYCLE_1) | instskip(NEXT) | instid1(SALU_CYCLE_1)
	s_mul_hi_u32 s7, s6, s7
	s_add_i32 s6, s6, s7
	s_ashr_i32 s7, s15, 31
	s_mul_hi_u32 s6, s8, s6
	s_load_b32 s15, s[0:1], 0x58
	s_mul_i32 s6, s6, s5
	s_delay_alu instid0(SALU_CYCLE_1) | instskip(NEXT) | instid1(SALU_CYCLE_1)
	s_sub_i32 s6, s8, s6
	s_sub_i32 s8, s6, s5
	s_cmp_ge_u32 s6, s5
	s_cselect_b32 s6, s8, s6
	s_delay_alu instid0(SALU_CYCLE_1)
	s_sub_i32 s8, s6, s5
	s_cmp_ge_u32 s6, s5
	s_cselect_b32 s5, s8, s6
	s_abs_i32 s6, s3
	s_xor_b32 s5, s5, s7
	v_cvt_f32_u32_e32 v1, s6
	s_sub_i32 s10, 0, s6
	s_sub_i32 s5, s5, s7
	s_delay_alu instid0(VALU_DEP_1) | instskip(SKIP_2) | instid1(VALU_DEP_1)
	v_rcp_iflag_f32_e32 v1, v1
	s_waitcnt_depctr 0xfff
	v_mul_f32_e32 v1, 0x4f7ffffe, v1
	v_cvt_u32_f32_e32 v1, v1
	s_delay_alu instid0(VALU_DEP_1) | instskip(NEXT) | instid1(VALU_DEP_1)
	v_readfirstlane_b32 s8, v1
	s_mul_i32 s10, s10, s8
	s_delay_alu instid0(SALU_CYCLE_1) | instskip(SKIP_2) | instid1(SALU_CYCLE_1)
	s_mul_hi_u32 s7, s8, s10
	s_abs_i32 s10, s5
	s_add_i32 s8, s8, s7
	s_mul_hi_u32 s7, s10, s8
	s_xor_b32 s8, s5, s3
	s_mul_i32 s11, s7, s6
	s_ashr_i32 s8, s8, 31
	s_sub_i32 s10, s10, s11
	s_add_i32 s11, s7, 1
	s_sub_i32 s12, s10, s6
	s_cmp_ge_u32 s10, s6
	s_cselect_b32 s7, s11, s7
	s_cselect_b32 s10, s12, s10
	s_add_i32 s11, s7, 1
	s_cmp_ge_u32 s10, s6
	s_cselect_b32 s6, s11, s7
	s_abs_i32 s7, s9
	s_abs_i32 s12, s4
	v_cvt_f32_u32_e32 v1, s7
	s_sub_i32 s11, 0, s7
	s_xor_b32 s6, s6, s8
	s_ashr_i32 s2, s2, 31
	s_sub_i32 s8, s6, s8
	v_rcp_iflag_f32_e32 v1, v1
	s_waitcnt_depctr 0xfff
	v_mul_f32_e32 v1, 0x4f7ffffe, v1
	s_delay_alu instid0(VALU_DEP_1) | instskip(NEXT) | instid1(VALU_DEP_1)
	v_cvt_u32_f32_e32 v1, v1
	v_readfirstlane_b32 s10, v1
	s_delay_alu instid0(VALU_DEP_1) | instskip(NEXT) | instid1(SALU_CYCLE_1)
	s_mul_i32 s11, s11, s10
	s_mul_hi_u32 s11, s10, s11
	s_delay_alu instid0(SALU_CYCLE_1) | instskip(NEXT) | instid1(SALU_CYCLE_1)
	s_add_i32 s10, s10, s11
	s_mul_hi_u32 s11, s12, s10
	s_delay_alu instid0(SALU_CYCLE_1) | instskip(NEXT) | instid1(SALU_CYCLE_1)
	s_mul_i32 s11, s11, s7
	s_sub_i32 s11, s12, s11
	s_delay_alu instid0(SALU_CYCLE_1) | instskip(SKIP_2) | instid1(SALU_CYCLE_1)
	s_sub_i32 s6, s11, s7
	s_cmp_ge_u32 s11, s7
	s_cselect_b32 s6, s6, s11
	s_sub_i32 s11, s6, s7
	s_cmp_ge_u32 s6, s7
	s_cselect_b32 s6, s11, s6
	s_delay_alu instid0(SALU_CYCLE_1) | instskip(NEXT) | instid1(SALU_CYCLE_1)
	s_xor_b32 s6, s6, s2
	s_sub_i32 s2, s6, s2
	s_delay_alu instid0(SALU_CYCLE_1) | instskip(NEXT) | instid1(SALU_CYCLE_1)
	s_sub_i32 s4, s4, s2
	s_cmp_lt_i32 s8, s4
	s_cselect_b32 s2, s9, s2
	s_abs_i32 s4, s8
	s_mul_i32 s9, s8, s3
	s_mul_hi_u32 s6, s4, s10
	s_sub_i32 s9, s5, s9
	s_mul_i32 s6, s6, s7
	s_ashr_i32 s10, s8, 31
	s_sub_i32 s4, s4, s6
	s_delay_alu instid0(SALU_CYCLE_1) | instskip(SKIP_2) | instid1(SALU_CYCLE_1)
	s_sub_i32 s5, s4, s7
	s_cmp_ge_u32 s4, s7
	s_cselect_b32 s4, s5, s4
	s_sub_i32 s5, s4, s7
	s_cmp_ge_u32 s4, s7
	s_cselect_b32 s11, s5, s4
	s_abs_i32 s12, s2
	s_xor_b32 s11, s11, s10
	v_cvt_f32_u32_e32 v1, s12
	s_sub_i32 s10, s11, s10
	s_sub_i32 s11, 0, s12
	s_mul_i32 s3, s10, s3
	s_clause 0x1
	s_load_b128 s[4:7], s[0:1], 0x0
	s_load_b32 s13, s[0:1], 0x20
	v_rcp_iflag_f32_e32 v1, v1
	s_add_i32 s3, s3, s9
	s_delay_alu instid0(SALU_CYCLE_1) | instskip(NEXT) | instid1(SALU_CYCLE_1)
	s_xor_b32 s16, s3, s2
	s_ashr_i32 s16, s16, 31
	s_waitcnt_depctr 0xfff
	v_mul_f32_e32 v1, 0x4f7ffffe, v1
	s_delay_alu instid0(VALU_DEP_1) | instskip(SKIP_3) | instid1(VALU_DEP_1)
	v_cvt_u32_f32_e32 v1, v1
	s_waitcnt lgkmcnt(0)
	s_mov_b32 s48, s4
	s_mov_b32 s4, 0
	v_readfirstlane_b32 s14, v1
	s_mov_b32 s49, s5
	s_mov_b32 s5, s4
	s_delay_alu instid0(VALU_DEP_1) | instskip(NEXT) | instid1(SALU_CYCLE_1)
	s_mul_i32 s11, s11, s14
	s_mul_hi_u32 s9, s14, s11
	s_abs_i32 s11, s3
	s_add_i32 s14, s14, s9
	s_load_b32 s9, s[0:1], 0x68
	s_mul_hi_u32 s14, s11, s14
	s_delay_alu instid0(SALU_CYCLE_1) | instskip(NEXT) | instid1(SALU_CYCLE_1)
	s_mul_i32 s17, s14, s12
	s_sub_i32 s11, s11, s17
	s_add_i32 s17, s14, 1
	s_sub_i32 s18, s11, s12
	s_cmp_ge_u32 s11, s12
	s_cselect_b32 s14, s17, s14
	s_cselect_b32 s11, s18, s11
	s_add_i32 s17, s14, 1
	s_cmp_ge_u32 s11, s12
	s_cselect_b32 s11, s17, s14
	s_sub_i32 s53, s8, s10
	s_xor_b32 s11, s11, s16
	s_mov_b32 s8, s4
	s_sub_i32 s11, s11, s16
	s_load_b32 s16, s[0:1], 0x80
	s_lshl_b32 s52, s11, 7
	s_mul_i32 s11, s11, s2
	v_add_nc_u32_e32 v26, s52, v24
	s_sub_i32 s2, s3, s11
	s_mov_b32 s10, s4
	s_mov_b32 s11, s4
	v_and_b32_e32 v25, 0x7e, v52
	s_add_i32 s53, s53, s2
	s_waitcnt lgkmcnt(0)
	v_mad_u64_u32 v[1:2], null, v26, s9, v[22:23]
	s_lshl_b32 s2, s53, 6
	s_load_b32 s3, s[0:1], 0xa0
	v_add_nc_u32_e32 v27, s2, v25
	s_lshl_b32 s50, s15, 1
	s_delay_alu instid0(VALU_DEP_2) | instskip(NEXT) | instid1(VALU_DEP_2)
	v_add_nc_u32_e32 v4, 14, v1
	v_mad_u64_u32 v[2:3], null, v27, s13, v[22:23]
	v_add_nc_u32_e32 v3, s9, v1
	v_lshlrev_b32_e32 v9, 1, v1
	s_delay_alu instid0(VALU_DEP_4)
	v_add_lshl_u32 v10, v4, s9, 1
	v_lshlrev_b32_e32 v11, 1, v4
	v_cmp_gt_i32_e64 s2, s16, v22
	v_add_nc_u32_e32 v12, s9, v3
	v_lshlrev_b32_e32 v5, 1, v2
	v_lshlrev_b32_e32 v19, 1, v3
	v_add_lshl_u32 v7, v2, s13, 1
	v_add_nc_u32_e32 v21, -8, v10
	v_add_nc_u32_e32 v31, 14, v12
	v_add_lshl_u32 v44, v12, s9, 1
	v_lshlrev_b32_e32 v43, 1, v12
	v_add_nc_u32_e32 v29, -16, v10
	v_subrev_nc_u32_e32 v30, 20, v10
	v_add_lshl_u32 v42, v31, s9, 1
	s_mov_b32 s9, s4
	v_add_nc_u32_e32 v6, 14, v2
	s_clause 0x2
	buffer_load_b128 v[1:4], v5, s[48:51], 0 offen
	buffer_load_b96 v[13:15], v5, s[48:51], 0 offen offset:16
	buffer_load_b32 v32, v7, s[48:51], 0 offen
	v_lshlrev_b32_e32 v31, 1, v31
	v_subrev_nc_u32_e32 v41, 24, v10
	v_add_lshl_u32 v8, v6, s13, 1
	v_lshlrev_b32_e32 v5, 1, v6
	v_add_nc_u32_e32 v45, -4, v42
	v_add_nc_u32_e32 v53, -8, v42
	;; [unrolled: 1-line block ×4, first 2 shown]
	s_clause 0x1
	buffer_load_b32 v34, v8, s[48:51], 0 offen
	buffer_load_b32 v33, v5, s[48:51], 0 offen
	v_add_nc_u32_e32 v7, -8, v8
	v_add_nc_u32_e32 v16, -12, v8
	;; [unrolled: 1-line block ×3, first 2 shown]
	v_subrev_nc_u32_e32 v17, 20, v8
	v_subrev_nc_u32_e32 v8, 24, v8
	s_clause 0x5
	buffer_load_b32 v35, v6, s[48:51], 0 offen
	buffer_load_b32 v36, v7, s[48:51], 0 offen
	;; [unrolled: 1-line block ×6, first 2 shown]
	s_mov_b32 s48, s6
	s_mov_b32 s49, s7
	;; [unrolled: 1-line block ×4, first 2 shown]
	v_add_nc_u32_e32 v20, -4, v10
	s_waitcnt lgkmcnt(0)
	s_lshl_b32 s50, s3, 1
	v_add_nc_u32_e32 v28, -12, v10
	v_mov_b32_e32 v152, s11
	s_clause 0x1
	buffer_load_b128 v[5:8], v9, s[48:51], 0 offen
	buffer_load_b96 v[16:18], v9, s[48:51], 0 offen offset:16
	v_add_nc_u32_e32 v55, -16, v42
	v_subrev_nc_u32_e32 v56, 24, v42
	v_mov_b32_e32 v145, s4
	s_clause 0xa
	buffer_load_b32 v46, v11, s[48:51], 0 offen
	buffer_load_b32 v47, v10, s[48:51], 0 offen
	;; [unrolled: 1-line block ×9, first 2 shown]
	buffer_load_b128 v[9:12], v43, s[48:51], 0 offen
	buffer_load_b96 v[19:21], v43, s[48:51], 0 offen offset:16
	v_subrev_nc_u32_e32 v43, 20, v42
	s_clause 0x8
	buffer_load_b32 v31, v31, s[48:51], 0 offen
	buffer_load_b32 v42, v42, s[48:51], 0 offen
	buffer_load_b32 v44, v44, s[48:51], 0 offen
	buffer_load_b32 v45, v45, s[48:51], 0 offen
	buffer_load_b32 v53, v53, s[48:51], 0 offen
	buffer_load_b32 v54, v54, s[48:51], 0 offen
	buffer_load_b32 v55, v55, s[48:51], 0 offen
	buffer_load_b32 v43, v43, s[48:51], 0 offen
	buffer_load_b32 v56, v56, s[48:51], 0 offen
	s_clause 0x2
	s_load_b32 s44, s[0:1], 0x2c
	s_load_b32 s12, s[0:1], 0x38
	;; [unrolled: 1-line block ×3, first 2 shown]
	v_and_or_b32 v23, v23, 8, v57
	v_dual_mov_b32 v151, s10 :: v_dual_lshlrev_b32 v24, 1, v24
	v_dual_mov_b32 v150, s9 :: v_dual_lshlrev_b32 v57, 1, v58
	s_delay_alu instid0(VALU_DEP_3)
	v_lshl_or_b32 v180, v23, 2, v59
	v_or_b32_e32 v23, 2, v22
	v_dual_mov_b32 v149, s8 :: v_dual_mov_b32 v148, s7
	v_dual_mov_b32 v147, s6 :: v_dual_mov_b32 v146, s5
	v_lshl_or_b32 v181, v171, 2, v57
	v_or_b32_e32 v57, 4, v22
	v_or_b32_e32 v59, 6, v22
	v_add_lshl_u32 v60, v60, v24, 1
	v_cmp_gt_i32_e64 s10, s16, v23
	v_add_nc_u32_e32 v24, 3, v26
	v_cmp_gt_i32_e64 s11, s16, v57
	s_waitcnt lgkmcnt(0)
	v_cmp_gt_i32_e32 vcc_lo, s12, v22
	v_cmp_gt_i32_e64 s3, s12, v23
	v_add_nc_u32_e32 v22, 1, v26
	v_add_nc_u32_e32 v23, 2, v26
	v_cmp_gt_i32_e64 s4, s12, v57
	v_cmp_gt_i32_e64 s5, s12, v59
	;; [unrolled: 1-line block ×15, first 2 shown]
	v_add_nc_u32_e32 v22, 1, v27
	v_mul_u32_u24_e32 v58, 0x82, v50
	v_lshlrev_b32_e32 v25, 1, v25
	s_and_b32 s21, s2, s17
	s_and_b32 s22, s10, s17
	;; [unrolled: 1-line block ×8, first 2 shown]
	v_cmp_gt_i32_e64 s28, s44, v27
	s_and_b32 s29, s16, s18
	s_and_b32 s30, s15, s18
	;; [unrolled: 1-line block ×24, first 2 shown]
	v_cmp_gt_i32_e64 s20, s44, v22
	v_add_lshl_u32 v58, v58, v25, 1
	s_and_b32 s44, vcc_lo, s28
	s_and_b32 s45, s3, s28
	s_and_b32 s46, s4, s28
	;; [unrolled: 1-line block ×8, first 2 shown]
	s_and_b32 vcc_lo, vcc_lo, s20
	s_and_b32 s4, s4, s20
	v_add_nc_u32_e32 v59, 0x71c, v58
	s_and_b32 s8, s8, s20
	s_and_b32 s6, s6, s20
	;; [unrolled: 1-line block ×5, first 2 shown]
	v_add_nc_u32_e32 v65, 0x400, v180
	v_add_nc_u32_e32 v66, 0x2000, v181
	;; [unrolled: 1-line block ×33, first 2 shown]
	s_waitcnt vmcnt(32)
	v_cndmask_b32_e64 v22, 0, v1, s44
	v_cndmask_b32_e64 v88, 0, v2, s45
	;; [unrolled: 1-line block ×3, first 2 shown]
	s_waitcnt vmcnt(30)
	v_cndmask_b32_e32 v23, 0, v32, vcc_lo
	v_cndmask_b32_e64 v13, 0, v13, s48
	v_cndmask_b32_e64 v90, 0, v14, s49
	;; [unrolled: 1-line block ×4, first 2 shown]
	s_waitcnt vmcnt(29)
	v_cndmask_b32_e64 v2, 0, v34, s9
	s_waitcnt vmcnt(28)
	v_cndmask_b32_e64 v1, 0, v33, s28
	;; [unrolled: 2-line block ×8, first 2 shown]
	ds_store_2addr_b32 v59, v1, v2 offset1:1
	s_waitcnt vmcnt(17)
	v_cndmask_b32_e64 v39, 0, v48, s30
	v_cndmask_b32_e64 v35, 0, v5, s21
	v_cndmask_b32_e64 v1, 0, v6, s22
	v_cndmask_b32_e64 v36, 0, v7, s23
	v_cndmask_b32_e64 v15, 0, v8, s24
	v_cndmask_b32_e64 v37, 0, v16, s25
	v_cndmask_b32_e64 v5, 0, v17, s26
	v_cndmask_b32_e64 v38, 0, v18, s27
	v_cndmask_b32_e64 v17, 0, v46, s17
	v_cndmask_b32_e64 v18, 0, v47, s29
	s_waitcnt vmcnt(16)
	v_cndmask_b32_e64 v6, 0, v49, s31
	s_waitcnt vmcnt(15)
	v_cndmask_b32_e64 v28, 0, v28, s33
	;; [unrolled: 2-line block ×7, first 2 shown]
	v_cndmask_b32_e64 v3, 0, v10, s38
	v_cndmask_b32_e64 v41, 0, v11, s39
	v_cndmask_b32_e64 v9, 0, v12, s40
	s_waitcnt vmcnt(9)
	v_cndmask_b32_e64 v19, 0, v19, s41
	v_cndmask_b32_e64 v7, 0, v20, s42
	;; [unrolled: 1-line block ×3, first 2 shown]
	s_waitcnt vmcnt(8)
	v_cndmask_b32_e64 v11, 0, v31, s19
	s_waitcnt vmcnt(7)
	v_cndmask_b32_e64 v12, 0, v42, s16
	;; [unrolled: 2-line block ×9, first 2 shown]
	ds_store_2addr_b64 v58, v[22:23], v[24:25] offset1:65
	ds_store_2addr_b64 v58, v[13:14], v[26:27] offset0:130 offset1:195
	ds_store_2addr_b32 v58, v88, v34 offset0:65 offset1:66
	ds_store_2addr_b32 v58, v89, v33 offset0:195 offset1:196
	ds_store_2addr_b32 v57, v90, v32 offset1:1
	ds_store_2addr_b64 v80, v[17:18], v[11:12] offset1:1
	ds_store_2addr_b32 v61, v35, v30 offset1:1
	ds_store_2addr_b32 v62, v40, v21 offset1:1
	;; [unrolled: 1-line block ×6, first 2 shown]
	ds_store_2addr_b64 v74, v[15:16], v[9:10] offset1:1
	ds_store_b128 v60, v[1:4] offset:8832
	ds_store_b128 v60, v[5:8] offset:10896
	ds_store_2addr_b32 v76, v19, v42 offset1:1
	ds_store_2addr_b32 v79, v20, v31 offset1:1
	s_waitcnt lgkmcnt(0)
	s_barrier
	ds_load_2addr_b32 v[17:18], v180 offset1:32
	ds_load_2addr_b32 v[1:2], v180 offset0:65 offset1:97
	ds_load_2addr_b32 v[19:20], v180 offset0:130 offset1:162
	ds_load_2addr_b32 v[3:4], v180 offset0:195 offset1:227
	ds_load_2addr_b32 v[21:22], v65 offset0:4 offset1:36
	ds_load_2addr_b32 v[5:6], v65 offset0:69 offset1:101
	ds_load_2addr_b32 v[23:24], v65 offset0:134 offset1:166
	ds_load_2addr_b32 v[7:8], v65 offset0:199 offset1:231
	ds_load_2addr_b32 v[9:10], v66 offset0:31 offset1:63
	ds_load_2addr_b32 v[25:26], v66 offset0:160 offset1:192
	ds_load_2addr_b32 v[11:12], v67 offset0:33 offset1:65
	ds_load_2addr_b32 v[27:28], v67 offset0:162 offset1:194
	ds_load_2addr_b32 v[13:14], v68 offset0:35 offset1:67
	ds_load_2addr_b32 v[29:30], v68 offset0:164 offset1:196
	ds_load_2addr_b32 v[15:16], v69 offset0:37 offset1:69
	ds_load_2addr_b32 v[31:32], v69 offset0:166 offset1:198
	ds_load_2addr_b32 v[61:62], v66 offset0:95 offset1:127
	ds_load_2addr_b32 v[41:42], v70 offset0:96 offset1:128
	ds_load_2addr_b32 v[63:64], v67 offset0:97 offset1:129
	ds_load_2addr_b32 v[43:44], v71 offset0:98 offset1:130
	ds_load_2addr_b32 v[88:89], v68 offset0:99 offset1:131
	ds_load_2addr_b32 v[45:46], v72 offset0:100 offset1:132
	ds_load_2addr_b32 v[90:91], v69 offset0:101 offset1:133
	ds_load_2addr_b32 v[47:48], v73 offset0:102 offset1:134
	ds_load_2addr_b32 v[73:74], v77 offset0:8 offset1:40
	ds_load_2addr_b32 v[121:122], v77 offset0:73 offset1:105
	ds_load_2addr_b32 v[75:76], v77 offset0:138 offset1:170
	ds_load_2addr_b32 v[123:124], v77 offset0:203 offset1:235
	ds_load_2addr_b32 v[77:78], v81 offset0:12 offset1:44
	ds_load_2addr_b32 v[125:126], v81 offset0:77 offset1:109
	ds_load_2addr_b32 v[79:80], v81 offset0:142 offset1:174
	ds_load_2addr_b32 v[127:128], v81 offset0:207 offset1:239
	ds_load_2addr_b32 v[92:93], v82 offset0:39 offset1:71
	ds_load_2addr_b32 v[65:66], v82 offset0:168 offset1:200
	ds_load_2addr_b32 v[94:95], v83 offset0:41 offset1:73
	ds_load_2addr_b32 v[67:68], v83 offset0:170 offset1:202
	ds_load_2addr_b32 v[113:114], v84 offset0:43 offset1:75
	ds_load_2addr_b32 v[69:70], v84 offset0:172 offset1:204
	ds_load_2addr_b32 v[115:116], v85 offset0:45 offset1:77
	ds_load_2addr_b32 v[71:72], v85 offset0:174 offset1:206
	ds_load_2addr_b32 v[129:130], v82 offset0:103 offset1:135
	ds_load_2addr_b32 v[53:54], v86 offset0:104 offset1:136
	ds_load_2addr_b32 v[131:132], v83 offset0:105 offset1:137
	ds_load_2addr_b32 v[55:56], v87 offset0:106 offset1:138
	ds_load_2addr_b32 v[133:134], v84 offset0:107 offset1:139
	ds_load_2addr_b32 v[57:58], v96 offset0:108 offset1:140
	ds_load_2addr_b32 v[135:136], v85 offset0:109 offset1:141
	ds_load_2addr_b32 v[59:60], v97 offset0:110 offset1:142
	ds_load_2addr_b32 v[97:98], v101 offset0:16 offset1:48
	ds_load_2addr_b32 v[161:162], v101 offset0:81 offset1:113
	ds_load_2addr_b32 v[99:100], v101 offset0:146 offset1:178
	ds_load_2addr_b32 v[163:164], v101 offset0:211 offset1:243
	ds_load_2addr_b32 v[101:102], v105 offset0:20 offset1:52
	ds_load_2addr_b32 v[165:166], v105 offset0:85 offset1:117
	ds_load_2addr_b32 v[103:104], v105 offset0:150 offset1:182
	ds_load_2addr_b32 v[167:168], v105 offset0:215 offset1:247
	ds_load_2addr_b32 v[169:170], v184 offset0:47 offset1:79
	v_add_nc_u32_e32 v182, 0x4200, v181
	v_add_nc_u32_e32 v185, 0x4400, v181
	s_waitcnt lgkmcnt(48)
	v_mov_b32_e32 v33, v9
	s_waitcnt lgkmcnt(46)
	v_dual_mov_b32 v34, v25 :: v_dual_mov_b32 v35, v11
	s_waitcnt lgkmcnt(44)
	v_dual_mov_b32 v36, v27 :: v_dual_mov_b32 v37, v13
	;; [unrolled: 2-line block ×4, first 2 shown]
	v_mov_b32_e32 v27, v12
	v_mov_b32_e32 v29, v14
	;; [unrolled: 1-line block ×3, first 2 shown]
	s_waitcnt lgkmcnt(40)
	v_mov_b32_e32 v81, v61
	s_waitcnt lgkmcnt(38)
	v_dual_mov_b32 v82, v41 :: v_dual_mov_b32 v83, v63
	s_waitcnt lgkmcnt(36)
	v_dual_mov_b32 v84, v43 :: v_dual_mov_b32 v85, v88
	;; [unrolled: 2-line block ×4, first 2 shown]
	v_mov_b32_e32 v43, v64
	v_mov_b32_e32 v45, v89
	v_mov_b32_e32 v47, v91
	v_mov_b32_e32 v105, v18
	v_dual_mov_b32 v106, v2 :: v_dual_mov_b32 v107, v20
	v_dual_mov_b32 v108, v4 :: v_dual_mov_b32 v109, v22
	;; [unrolled: 1-line block ×3, first 2 shown]
	v_mov_b32_e32 v112, v8
	v_mov_b32_e32 v18, v1
	;; [unrolled: 1-line block ×4, first 2 shown]
	v_dual_mov_b32 v24, v7 :: v_dual_add_nc_u32 v49, 0x4800, v181
	s_waitcnt lgkmcnt(23)
	v_dual_mov_b32 v9, v92 :: v_dual_mov_b32 v10, v65
	s_waitcnt lgkmcnt(21)
	v_dual_mov_b32 v11, v94 :: v_dual_mov_b32 v12, v67
	s_waitcnt lgkmcnt(20)
	v_mov_b32_e32 v13, v113
	s_waitcnt lgkmcnt(18)
	v_dual_mov_b32 v14, v69 :: v_dual_mov_b32 v15, v115
	s_waitcnt lgkmcnt(17)
	v_dual_mov_b32 v16, v71 :: v_dual_mov_b32 v65, v93
	v_mov_b32_e32 v67, v95
	v_mov_b32_e32 v69, v114
	;; [unrolled: 1-line block ×3, first 2 shown]
	v_wmma_f32_16x16x16_bf16 v[1:8], v[105:112], v[33:40], v[145:152]
	v_wmma_f32_16x16x16_bf16 v[89:96], v[105:112], v[81:88], v[145:152]
	v_wmma_f32_16x16x16_bf16 v[172:179], v[17:24], v[33:40], v[145:152]
	v_wmma_f32_16x16x16_bf16 v[153:160], v[17:24], v[81:88], v[145:152]
	v_wmma_f32_16x16x16_bf16 v[33:40], v[105:112], v[25:32], v[145:152]
	v_wmma_f32_16x16x16_bf16 v[113:120], v[105:112], v[41:48], v[145:152]
	v_wmma_f32_16x16x16_bf16 v[137:144], v[17:24], v[41:48], v[145:152]
	v_wmma_f32_16x16x16_bf16 v[145:152], v[17:24], v[25:32], v[145:152]
	ds_load_2addr_b32 v[81:82], v184 offset0:176 offset1:208
	s_waitcnt lgkmcnt(8)
	v_dual_mov_b32 v41, v98 :: v_dual_mov_b32 v98, v161
	ds_load_2addr_b32 v[17:18], v185 offset0:49 offset1:81
	ds_load_2addr_b32 v[83:84], v185 offset0:178 offset1:210
	;; [unrolled: 1-line block ×4, first 2 shown]
	v_mov_b32_e32 v106, v53
	v_dual_mov_b32 v108, v55 :: v_dual_mov_b32 v53, v130
	v_mov_b32_e32 v55, v132
	v_mov_b32_e32 v25, v74
	;; [unrolled: 1-line block ×3, first 2 shown]
	v_dual_mov_b32 v74, v121 :: v_dual_mov_b32 v27, v76
	v_mov_b32_e32 v28, v124
	v_dual_mov_b32 v76, v123 :: v_dual_mov_b32 v29, v78
	v_mov_b32_e32 v30, v126
	;; [unrolled: 2-line block ×3, first 2 shown]
	v_mov_b32_e32 v80, v127
	v_mov_b32_e32 v110, v57
	v_dual_mov_b32 v112, v59 :: v_dual_mov_b32 v57, v134
	v_mov_b32_e32 v59, v136
	v_add_nc_u32_e32 v23, 0x4e00, v181
	v_dual_mov_b32 v42, v162 :: v_dual_add_nc_u32 v183, 0x4600, v181
	v_add_nc_u32_e32 v21, 0x4a00, v181
	s_delay_alu instid0(VALU_DEP_4)
	v_wmma_f32_16x16x16_bf16 v[137:144], v[73:80], v[53:60], v[137:144]
	v_wmma_f32_16x16x16_bf16 v[113:120], v[25:32], v[53:60], v[113:120]
	s_waitcnt lgkmcnt(2)
	v_dual_mov_b32 v59, v17 :: v_dual_mov_b32 v60, v83
	v_mov_b32_e32 v83, v18
	ds_load_2addr_b32 v[17:18], v182 offset0:112 offset1:144
	ds_load_2addr_b32 v[19:20], v183 offset0:114 offset1:146
	;; [unrolled: 1-line block ×5, first 2 shown]
	s_waitcnt lgkmcnt(5)
	v_dual_mov_b32 v61, v62 :: v_dual_mov_b32 v62, v85
	v_mov_b32_e32 v85, v63
	ds_load_2addr_b32 v[55:56], v185 offset0:113 offset1:145
	ds_load_2addr_b32 v[63:64], v49 offset0:115 offset1:147
	v_add_nc_u32_e32 v51, 0x4c00, v181
	v_mov_b32_e32 v105, v129
	v_mov_b32_e32 v107, v131
	;; [unrolled: 1-line block ×4, first 2 shown]
	v_add_nc_u32_e32 v49, 0x5000, v181
	v_wmma_f32_16x16x16_bf16 v[172:179], v[73:80], v[9:16], v[172:179]
	v_mov_b32_e32 v43, v100
	v_mov_b32_e32 v44, v164
	v_dual_mov_b32 v100, v163 :: v_dual_mov_b32 v45, v102
	s_waitcnt lgkmcnt(6)
	v_mov_b32_e32 v122, v17
	s_waitcnt lgkmcnt(4)
	v_dual_mov_b32 v124, v19 :: v_dual_mov_b32 v17, v54
	v_mov_b32_e32 v121, v53
	ds_load_2addr_b32 v[53:54], v51 offset0:117 offset1:149
	v_wmma_f32_16x16x16_bf16 v[145:152], v[73:80], v[65:72], v[145:152]
	s_waitcnt lgkmcnt(2)
	v_dual_mov_b32 v126, v21 :: v_dual_mov_b32 v19, v56
	v_mov_b32_e32 v123, v55
	ds_load_2addr_b32 v[87:88], v51 offset0:182 offset1:214
	ds_load_2addr_b32 v[55:56], v51 offset0:53 offset1:85
	v_mov_b32_e32 v128, v23
	v_wmma_f32_16x16x16_bf16 v[153:160], v[73:80], v[105:112], v[153:160]
	ds_load_2addr_b32 v[77:78], v49 offset0:55 offset1:87
	ds_load_2addr_b32 v[73:74], v49 offset0:184 offset1:216
	v_mov_b32_e32 v46, v166
	v_dual_mov_b32 v102, v165 :: v_dual_mov_b32 v47, v104
	v_mov_b32_e32 v48, v168
	s_waitcnt lgkmcnt(5)
	v_dual_mov_b32 v104, v167 :: v_dual_mov_b32 v21, v64
	v_mov_b32_e32 v125, v63
	v_add_nc_u32_e32 v51, 0x5400, v181
	v_mov_b32_e32 v57, v169
	s_waitcnt lgkmcnt(4)
	v_dual_mov_b32 v58, v81 :: v_dual_mov_b32 v23, v54
	v_mov_b32_e32 v127, v53
	s_waitcnt lgkmcnt(3)
	v_dual_mov_b32 v81, v170 :: v_dual_mov_b32 v64, v87
	s_waitcnt lgkmcnt(2)
	v_mov_b32_e32 v63, v55
	v_add_nc_u32_e32 v55, 0x5800, v181
	v_dual_mov_b32 v87, v56 :: v_dual_add_nc_u32 v56, 0x5c00, v181
	v_wmma_f32_16x16x16_bf16 v[137:144], v[97:104], v[17:24], v[137:144]
	v_wmma_f32_16x16x16_bf16 v[113:120], v[41:48], v[17:24], v[113:120]
	ds_load_2addr_b32 v[75:76], v51 offset0:186 offset1:218
	ds_load_2addr_b32 v[20:21], v51 offset0:57 offset1:89
	s_waitcnt lgkmcnt(3)
	v_mov_b32_e32 v17, v77
	s_waitcnt lgkmcnt(2)
	v_dual_mov_b32 v18, v73 :: v_dual_mov_b32 v73, v78
	ds_load_2addr_b32 v[22:23], v55 offset0:59 offset1:91
	ds_load_2addr_b32 v[77:78], v55 offset0:188 offset1:220
	;; [unrolled: 1-line block ×4, first 2 shown]
	v_wmma_f32_16x16x16_bf16 v[172:179], v[97:104], v[57:64], v[172:179]
	v_wmma_f32_16x16x16_bf16 v[153:160], v[97:104], v[121:128], v[153:160]
	;; [unrolled: 1-line block ×3, first 2 shown]
	v_add_nc_u32_e32 v97, 0x5200, v181
	s_waitcnt lgkmcnt(4)
	v_dual_mov_b32 v19, v20 :: v_dual_mov_b32 v20, v75
	v_mov_b32_e32 v75, v21
	s_waitcnt lgkmcnt(2)
	v_dual_mov_b32 v21, v22 :: v_dual_mov_b32 v22, v77
	v_mov_b32_e32 v77, v23
	;; [unrolled: 3-line block ×3, first 2 shown]
	ds_load_2addr_b32 v[53:54], v49 offset0:119 offset1:151
	ds_load_2addr_b32 v[129:130], v97 offset0:120 offset1:152
	v_add_nc_u32_e32 v49, 0x5600, v181
	v_wmma_f32_16x16x16_bf16 v[33:40], v[25:32], v[65:72], v[33:40]
	v_not_b32_e32 v72, 63
	s_waitcnt lgkmcnt(1)
	v_mov_b32_e32 v97, v53
	s_waitcnt lgkmcnt(0)
	v_dual_mov_b32 v98, v129 :: v_dual_mov_b32 v129, v54
	ds_load_2addr_b32 v[131:132], v49 offset0:122 offset1:154
	ds_load_2addr_b32 v[53:54], v51 offset0:121 offset1:153
	s_waitcnt lgkmcnt(1)
	v_dual_mov_b32 v100, v131 :: v_dual_add_nc_u32 v49, 0x5a00, v181
	s_waitcnt lgkmcnt(0)
	v_mov_b32_e32 v99, v53
	v_mov_b32_e32 v131, v54
	ds_load_2addr_b32 v[133:134], v49 offset0:124 offset1:156
	ds_load_2addr_b32 v[53:54], v55 offset0:123 offset1:155
	s_waitcnt lgkmcnt(1)
	v_dual_mov_b32 v102, v133 :: v_dual_add_nc_u32 v49, 0x5e00, v181
	s_waitcnt lgkmcnt(0)
	v_mov_b32_e32 v101, v53
	v_mov_b32_e32 v133, v54
	ds_load_2addr_b32 v[135:136], v49 offset0:126 offset1:158
	ds_load_2addr_b32 v[53:54], v56 offset0:125 offset1:157
	v_add_nc_u32_e32 v56, 0x1c00, v180
	s_waitcnt lgkmcnt(0)
	v_dual_mov_b32 v104, v135 :: v_dual_mov_b32 v135, v54
	v_add_nc_u32_e32 v54, 0x1800, v180
	ds_load_2addr_b32 v[180:181], v54 offset0:24 offset1:56
	ds_load_2addr_b32 v[182:183], v54 offset0:154 offset1:186
	;; [unrolled: 1-line block ×5, first 2 shown]
	v_mov_b32_e32 v103, v53
	v_wmma_f32_16x16x16_bf16 v[89:96], v[25:32], v[105:112], v[89:96]
	s_waitcnt lgkmcnt(4)
	v_mov_b32_e32 v49, v181
	s_waitcnt lgkmcnt(3)
	v_mov_b32_e32 v51, v183
	;; [unrolled: 2-line block ×5, first 2 shown]
	ds_load_2addr_b32 v[166:167], v54 offset0:219 offset1:251
	v_and_b32_e32 v54, 8, v52
	s_waitcnt lgkmcnt(0)
	v_dual_mov_b32 v183, v166 :: v_dual_and_b32 v52, 16, v52
	ds_load_2addr_b32 v[165:166], v56 offset0:93 offset1:125
	s_waitcnt lgkmcnt(0)
	v_mov_b32_e32 v185, v165
	ds_load_2addr_b32 v[164:165], v56 offset0:223 offset1:255
	v_lshrrev_b32_e32 v56, 2, v0
	s_waitcnt lgkmcnt(0)
	s_barrier
	s_delay_alu instid0(VALU_DEP_1) | instskip(NEXT) | instid1(VALU_DEP_1)
	v_and_or_b32 v54, v56, 16, v54
	v_lshlrev_b32_e32 v54, 5, v54
	s_delay_alu instid0(VALU_DEP_1) | instskip(SKIP_1) | instid1(VALU_DEP_2)
	v_or3_b32 v52, v54, v52, v171
	v_mov_b32_e32 v187, v164
	v_lshlrev_b32_e32 v171, 2, v52
	v_lshrrev_b32_e32 v52, 7, v0
	v_bfe_u32 v0, v0, 2, 5
	s_delay_alu instid0(VALU_DEP_4)
	v_wmma_f32_16x16x16_bf16 v[172:179], v[180:187], v[17:24], v[172:179]
	ds_store_2addr_b32 v171, v172, v173 offset1:32
	ds_store_2addr_b32 v171, v174, v175 offset0:64 offset1:96
	ds_store_2addr_b32 v171, v176, v177 offset0:128 offset1:160
	ds_store_2addr_b32 v171, v178, v179 offset0:192 offset1:224
	v_lshlrev_b32_e32 v54, 10, v52
	v_lshlrev_b32_e32 v56, 5, v0
	s_waitcnt lgkmcnt(0)
	s_barrier
	v_add_nc_u32_e32 v52, s53, v52
	v_wmma_f32_16x16x16_bf16 v[145:152], v[180:187], v[73:80], v[145:152]
	v_or3_b32 v54, v56, v54, v50
	v_wmma_f32_16x16x16_bf16 v[153:160], v[180:187], v[97:104], v[153:160]
	v_wmma_f32_16x16x16_bf16 v[137:144], v[180:187], v[129:136], v[137:144]
	s_delay_alu instid0(VALU_DEP_3)
	v_lshlrev_b32_e32 v172, 2, v54
	v_wmma_f32_16x16x16_bf16 v[33:40], v[41:48], v[81:88], v[33:40]
	ds_load_b128 v[161:164], v172
	s_waitcnt lgkmcnt(0)
	v_bfe_u32 v54, v161, 16, 1
	v_cmp_o_f32_e32 vcc_lo, v161, v161
	v_bfe_u32 v56, v162, 16, 1
	v_cmp_o_f32_e64 s2, v162, v162
	v_cmp_o_f32_e64 s3, v163, v163
	v_add3_u32 v54, v161, v54, 0x7fff
	v_bfe_u32 v161, v163, 16, 1
	v_add3_u32 v56, v162, v56, 0x7fff
	v_cmp_o_f32_e64 s4, v164, v164
	s_delay_alu instid0(VALU_DEP_4) | instskip(NEXT) | instid1(VALU_DEP_4)
	v_lshrrev_b32_e32 v54, 16, v54
	v_add3_u32 v169, v163, v161, 0x7fff
	v_bfe_u32 v161, v164, 16, 1
	v_lshrrev_b32_e32 v56, 16, v56
	s_delay_alu instid0(VALU_DEP_4) | instskip(NEXT) | instid1(VALU_DEP_3)
	v_cndmask_b32_e32 v54, 0x7fc0, v54, vcc_lo
	v_add3_u32 v170, v164, v161, 0x7fff
	ds_load_b128 v[161:164], v172 offset:16
	s_clause 0x2
	s_load_b32 s13, s[0:1], 0xc8
	s_load_b32 s11, s[0:1], 0xbc
	;; [unrolled: 1-line block ×3, first 2 shown]
	v_cndmask_b32_e64 v56, 0x7fc0, v56, s2
	s_waitcnt lgkmcnt(0)
	v_bfe_u32 v173, v161, 16, 1
	v_bfe_u32 v174, v162, 16, 1
	;; [unrolled: 1-line block ×4, first 2 shown]
	v_cmp_o_f32_e64 s5, v162, v162
	v_add3_u32 v173, v161, v173, 0x7fff
	v_add3_u32 v174, v162, v174, 0x7fff
	v_add3_u32 v175, v163, v175, 0x7fff
	v_add3_u32 v176, v164, v176, 0x7fff
	v_cmp_o_f32_e64 s6, v163, v163
	v_cmp_o_f32_e64 s7, v164, v164
	;; [unrolled: 1-line block ×3, first 2 shown]
	v_lshrrev_b32_e32 v161, 16, v173
	v_lshrrev_b32_e32 v162, 16, v175
	;; [unrolled: 1-line block ×4, first 2 shown]
	s_delay_alu instid0(VALU_DEP_4) | instskip(NEXT) | instid1(VALU_DEP_4)
	v_cndmask_b32_e64 v161, 0x7fc0, v161, s8
	v_cndmask_b32_e64 v162, 0x7fc0, v162, s6
	s_delay_alu instid0(VALU_DEP_4) | instskip(NEXT) | instid1(VALU_DEP_4)
	v_cndmask_b32_e64 v163, 0x7fc0, v163, s7
	v_cndmask_b32_e64 v173, 0x7fc0, v164, s5
	s_delay_alu instid0(VALU_DEP_2) | instskip(NEXT) | instid1(VALU_DEP_2)
	v_perm_b32 v164, v163, v162, 0x5040100
	v_perm_b32 v163, v173, v161, 0x5040100
	v_lshrrev_b32_e32 v161, 16, v169
	v_lshl_or_b32 v173, v52, 6, v0
	v_or_b32_e32 v0, s52, v50
	v_lshrrev_b32_e32 v162, 16, v170
	s_delay_alu instid0(VALU_DEP_4)
	v_cndmask_b32_e64 v161, 0x7fc0, v161, s3
	s_clause 0x1
	s_load_b32 s3, s[0:1], 0xf0
	s_load_b64 s[48:49], s[0:1], 0x10
	v_mad_u64_u32 v[169:170], null, v173, s12, v[0:1]
	v_cmp_gt_i32_e32 vcc_lo, s13, v0
	v_cmp_gt_i32_e64 s2, s11, v173
	v_cndmask_b32_e64 v162, 0x7fc0, v162, s4
	v_or_b32_e32 v111, 32, v173
	v_wmma_f32_16x16x16_bf16 v[1:8], v[25:32], v[9:16], v[1:8]
	v_mov_b32_e32 v16, 0xffffff80
	s_and_b32 s0, vcc_lo, s2
	v_lshlrev_b32_e32 v50, 1, v169
	v_cndmask_b32_e64 v52, 0x80000000, 0, s0
	v_perm_b32 v162, v162, v161, 0x5040100
	v_perm_b32 v161, v56, v54, 0x5040100
	s_delay_alu instid0(VALU_DEP_3)
	v_add_nc_u32_e32 v52, v52, v50
	s_waitcnt lgkmcnt(0)
	s_lshl_b32 s50, s3, 1
	buffer_store_b128 v[161:164], v52, s[48:51], 0 offen
	s_waitcnt lgkmcnt(0)
	s_waitcnt_vscnt null, 0x0
	s_barrier
	ds_store_2addr_b32 v171, v145, v146 offset1:32
	ds_store_2addr_b32 v171, v147, v148 offset0:64 offset1:96
	ds_store_2addr_b32 v171, v149, v150 offset0:128 offset1:160
	;; [unrolled: 1-line block ×3, first 2 shown]
	s_waitcnt lgkmcnt(0)
	s_barrier
	ds_load_b128 v[145:148], v172
	s_waitcnt lgkmcnt(0)
	v_bfe_u32 v52, v145, 16, 1
	v_cmp_o_f32_e64 s0, v145, v145
	v_bfe_u32 v54, v146, 16, 1
	v_bfe_u32 v56, v147, 16, 1
	v_cmp_o_f32_e64 s1, v146, v146
	v_add3_u32 v52, v145, v52, 0x7fff
	v_bfe_u32 v145, v148, 16, 1
	v_add3_u32 v54, v146, v54, 0x7fff
	v_add3_u32 v56, v147, v56, 0x7fff
	v_cmp_o_f32_e64 s3, v147, v147
	v_cmp_o_f32_e64 s4, v148, v148
	v_add3_u32 v149, v148, v145, 0x7fff
	ds_load_b128 v[145:148], v172 offset:16
	v_lshrrev_b32_e32 v56, 16, v56
	v_lshrrev_b32_e32 v52, 16, v52
	;; [unrolled: 1-line block ×3, first 2 shown]
	s_delay_alu instid0(VALU_DEP_3) | instskip(NEXT) | instid1(VALU_DEP_3)
	v_cndmask_b32_e64 v56, 0x7fc0, v56, s3
	v_cndmask_b32_e64 v52, 0x7fc0, v52, s0
	s_delay_alu instid0(VALU_DEP_3)
	v_cndmask_b32_e64 v54, 0x7fc0, v54, s1
	s_waitcnt lgkmcnt(0)
	v_bfe_u32 v150, v145, 16, 1
	v_bfe_u32 v151, v146, 16, 1
	v_bfe_u32 v152, v147, 16, 1
	v_bfe_u32 v161, v148, 16, 1
	v_cmp_o_f32_e64 s5, v146, v146
	v_add3_u32 v150, v145, v150, 0x7fff
	v_add3_u32 v151, v146, v151, 0x7fff
	;; [unrolled: 1-line block ×4, first 2 shown]
	v_cmp_o_f32_e64 s6, v147, v147
	v_cmp_o_f32_e64 s7, v148, v148
	;; [unrolled: 1-line block ×3, first 2 shown]
	v_lshrrev_b32_e32 v145, 16, v150
	v_lshrrev_b32_e32 v146, 16, v152
	;; [unrolled: 1-line block ×4, first 2 shown]
	s_delay_alu instid0(VALU_DEP_4) | instskip(NEXT) | instid1(VALU_DEP_4)
	v_cndmask_b32_e64 v145, 0x7fc0, v145, s8
	v_cndmask_b32_e64 v146, 0x7fc0, v146, s6
	s_delay_alu instid0(VALU_DEP_4) | instskip(NEXT) | instid1(VALU_DEP_4)
	v_cndmask_b32_e64 v147, 0x7fc0, v147, s7
	v_cndmask_b32_e64 v150, 0x7fc0, v148, s5
	s_delay_alu instid0(VALU_DEP_2) | instskip(NEXT) | instid1(VALU_DEP_2)
	v_perm_b32 v148, v147, v146, 0x5040100
	v_perm_b32 v147, v150, v145, 0x5040100
	v_lshrrev_b32_e32 v145, 16, v149
	s_delay_alu instid0(VALU_DEP_1) | instskip(NEXT) | instid1(VALU_DEP_1)
	v_cndmask_b32_e64 v145, 0x7fc0, v145, s4
	v_perm_b32 v146, v145, v56, 0x5040100
	v_perm_b32 v145, v54, v52, 0x5040100
	v_or_b32_e32 v52, 32, v0
	s_delay_alu instid0(VALU_DEP_1) | instskip(NEXT) | instid1(VALU_DEP_1)
	v_cmp_gt_i32_e64 s0, s13, v52
	s_and_b32 s1, s2, s0
	s_delay_alu instid0(SALU_CYCLE_1) | instskip(NEXT) | instid1(VALU_DEP_1)
	v_cndmask_b32_e64 v52, 0x80000000, 0, s1
	v_add_nc_u32_e32 v52, v50, v52
	buffer_store_b128 v[145:148], v52, s[48:51], 0 offen offset:64
	s_waitcnt lgkmcnt(0)
	s_waitcnt_vscnt null, 0x0
	s_barrier
	ds_store_2addr_b32 v171, v153, v154 offset1:32
	ds_store_2addr_b32 v171, v155, v156 offset0:64 offset1:96
	ds_store_2addr_b32 v171, v157, v158 offset0:128 offset1:160
	;; [unrolled: 1-line block ×3, first 2 shown]
	s_waitcnt lgkmcnt(0)
	s_barrier
	ds_load_b128 v[145:148], v172
	s_waitcnt lgkmcnt(0)
	v_bfe_u32 v52, v145, 16, 1
	v_cmp_o_f32_e64 s1, v145, v145
	v_bfe_u32 v54, v146, 16, 1
	v_bfe_u32 v56, v147, 16, 1
	v_cmp_o_f32_e64 s3, v146, v146
	v_add3_u32 v52, v145, v52, 0x7fff
	v_bfe_u32 v145, v148, 16, 1
	v_add3_u32 v54, v146, v54, 0x7fff
	v_add3_u32 v56, v147, v56, 0x7fff
	v_cmp_o_f32_e64 s4, v147, v147
	v_cmp_o_f32_e64 s5, v148, v148
	v_add3_u32 v149, v148, v145, 0x7fff
	ds_load_b128 v[145:148], v172 offset:16
	v_lshrrev_b32_e32 v56, 16, v56
	v_lshrrev_b32_e32 v52, 16, v52
	;; [unrolled: 1-line block ×3, first 2 shown]
	s_delay_alu instid0(VALU_DEP_3) | instskip(NEXT) | instid1(VALU_DEP_3)
	v_cndmask_b32_e64 v56, 0x7fc0, v56, s4
	v_cndmask_b32_e64 v52, 0x7fc0, v52, s1
	s_delay_alu instid0(VALU_DEP_3)
	v_cndmask_b32_e64 v54, 0x7fc0, v54, s3
	s_waitcnt lgkmcnt(0)
	v_bfe_u32 v150, v145, 16, 1
	v_bfe_u32 v151, v146, 16, 1
	v_bfe_u32 v152, v147, 16, 1
	v_bfe_u32 v153, v148, 16, 1
	v_cmp_o_f32_e64 s6, v146, v146
	v_add3_u32 v150, v145, v150, 0x7fff
	v_add3_u32 v151, v146, v151, 0x7fff
	;; [unrolled: 1-line block ×4, first 2 shown]
	v_cmp_o_f32_e64 s7, v147, v147
	v_cmp_o_f32_e64 s8, v148, v148
	;; [unrolled: 1-line block ×3, first 2 shown]
	v_lshrrev_b32_e32 v145, 16, v150
	v_lshrrev_b32_e32 v146, 16, v152
	;; [unrolled: 1-line block ×4, first 2 shown]
	s_delay_alu instid0(VALU_DEP_4) | instskip(NEXT) | instid1(VALU_DEP_4)
	v_cndmask_b32_e64 v145, 0x7fc0, v145, s9
	v_cndmask_b32_e64 v146, 0x7fc0, v146, s7
	s_delay_alu instid0(VALU_DEP_4) | instskip(NEXT) | instid1(VALU_DEP_4)
	v_cndmask_b32_e64 v147, 0x7fc0, v147, s8
	v_cndmask_b32_e64 v150, 0x7fc0, v148, s6
	s_delay_alu instid0(VALU_DEP_2) | instskip(NEXT) | instid1(VALU_DEP_2)
	v_perm_b32 v148, v147, v146, 0x5040100
	v_perm_b32 v147, v150, v145, 0x5040100
	v_lshrrev_b32_e32 v145, 16, v149
	s_delay_alu instid0(VALU_DEP_1) | instskip(NEXT) | instid1(VALU_DEP_1)
	v_cndmask_b32_e64 v145, 0x7fc0, v145, s5
	v_perm_b32 v146, v145, v56, 0x5040100
	v_perm_b32 v145, v54, v52, 0x5040100
	v_or_b32_e32 v52, 64, v0
	v_or_b32_e32 v0, 0x60, v0
	v_mov_b32_e32 v54, v166
	s_delay_alu instid0(VALU_DEP_3) | instskip(NEXT) | instid1(VALU_DEP_1)
	v_cmp_gt_i32_e64 s1, s13, v52
	s_and_b32 s3, s2, s1
	s_delay_alu instid0(SALU_CYCLE_1) | instskip(NEXT) | instid1(VALU_DEP_1)
	v_cndmask_b32_e64 v52, 0x80000000, 0, s3
	v_add_nc_u32_e32 v50, v50, v52
	v_mov_b32_e32 v52, v167
	v_wmma_f32_16x16x16_bf16 v[89:96], v[41:48], v[121:128], v[89:96]
	buffer_store_b128 v[145:148], v50, s[48:51], 0 offen offset:128
	s_waitcnt lgkmcnt(0)
	s_waitcnt_vscnt null, 0x0
	s_barrier
	ds_store_2addr_b32 v171, v137, v138 offset1:32
	ds_store_2addr_b32 v171, v139, v140 offset0:64 offset1:96
	ds_store_2addr_b32 v171, v141, v142 offset0:128 offset1:160
	;; [unrolled: 1-line block ×3, first 2 shown]
	s_waitcnt lgkmcnt(0)
	s_barrier
	ds_load_b128 v[137:140], v172
	ds_load_b128 v[141:144], v172 offset:16
	v_mov_b32_e32 v50, v168
	s_waitcnt lgkmcnt(1)
	v_bfe_u32 v56, v137, 16, 1
	v_bfe_u32 v147, v139, 16, 1
	;; [unrolled: 1-line block ×3, first 2 shown]
	v_cmp_o_f32_e64 s3, v137, v137
	v_cmp_o_f32_e64 s6, v140, v140
	v_add3_u32 v146, v137, v56, 0x7fff
	v_add3_u32 v137, v139, v147, 0x7fff
	v_add3_u32 v147, v140, v148, 0x7fff
	s_waitcnt lgkmcnt(0)
	v_bfe_u32 v140, v143, 16, 1
	v_bfe_u32 v145, v138, 16, 1
	v_cmp_o_f32_e64 s4, v138, v138
	v_cmp_o_f32_e64 s5, v139, v139
	v_bfe_u32 v139, v142, 16, 1
	v_add3_u32 v140, v143, v140, 0x7fff
	v_add3_u32 v145, v138, v145, 0x7fff
	v_bfe_u32 v138, v141, 16, 1
	v_bfe_u32 v148, v144, 16, 1
	v_cmp_o_f32_e64 s7, v143, v143
	v_lshrrev_b32_e32 v140, 16, v140
	v_add3_u32 v139, v142, v139, 0x7fff
	v_add3_u32 v138, v141, v138, 0x7fff
	;; [unrolled: 1-line block ×3, first 2 shown]
	v_lshrrev_b32_e32 v146, 16, v146
	v_cndmask_b32_e64 v140, 0x7fc0, v140, s7
	v_cmp_gt_i32_e64 s7, s13, v0
	v_lshrrev_b32_e32 v145, 16, v145
	v_lshrrev_b32_e32 v137, 16, v137
	;; [unrolled: 1-line block ×5, first 2 shown]
	v_cmp_o_f32_e64 s8, v141, v141
	v_lshrrev_b32_e32 v141, 16, v148
	v_cmp_o_f32_e64 s9, v144, v144
	v_cmp_o_f32_e64 s10, v142, v142
	s_and_b32 s2, s2, s7
	v_mov_b32_e32 v56, v165
	v_cndmask_b32_e64 v138, 0x7fc0, v138, s8
	v_cndmask_b32_e64 v141, 0x7fc0, v141, s9
	v_cndmask_b32_e64 v139, 0x7fc0, v139, s10
	v_cndmask_b32_e64 v0, 0x7fc0, v137, s5
	v_cndmask_b32_e64 v137, 0x7fc0, v147, s6
	v_cndmask_b32_e64 v142, 0x7fc0, v146, s3
	v_cndmask_b32_e64 v143, 0x7fc0, v145, s4
	v_add_nc_u32_e32 v144, 0x60, v169
	v_cndmask_b32_e64 v145, 0x80000000, 0, s2
	v_perm_b32 v140, v141, v140, 0x5040100
	v_perm_b32 v139, v139, v138, 0x5040100
	;; [unrolled: 1-line block ×4, first 2 shown]
	v_lshl_add_u32 v0, v144, 1, v145
	v_wmma_f32_16x16x16_bf16 v[113:120], v[49:56], v[129:136], v[113:120]
	s_lshl_b32 s8, s12, 5
	v_wmma_f32_16x16x16_bf16 v[89:96], v[49:56], v[97:104], v[89:96]
	v_wmma_f32_16x16x16_bf16 v[33:40], v[49:56], v[73:80], v[33:40]
	buffer_store_b128 v[137:140], v0, s[48:51], 0 offen
	s_waitcnt lgkmcnt(0)
	s_waitcnt_vscnt null, 0x0
	s_barrier
	ds_store_2addr_b32 v171, v113, v114 offset1:32
	ds_store_2addr_b32 v171, v115, v116 offset0:64 offset1:96
	ds_store_2addr_b32 v171, v117, v118 offset0:128 offset1:160
	ds_store_2addr_b32 v171, v119, v120 offset0:192 offset1:224
	s_waitcnt lgkmcnt(0)
	s_barrier
	ds_load_b128 v[113:116], v172
	ds_load_b128 v[105:108], v172 offset:16
	s_waitcnt lgkmcnt(1)
	v_bfe_u32 v0, v113, 16, 1
	v_bfe_u32 v110, v115, 16, 1
	v_cmp_o_f32_e64 s2, v113, v113
	v_bfe_u32 v109, v114, 16, 1
	v_bfe_u32 v112, v116, 16, 1
	v_add3_u32 v0, v113, v0, 0x7fff
	v_add3_u32 v110, v115, v110, 0x7fff
	s_waitcnt lgkmcnt(0)
	v_bfe_u32 v113, v105, 16, 1
	v_add3_u32 v109, v114, v109, 0x7fff
	v_add3_u32 v112, v116, v112, 0x7fff
	v_lshrrev_b32_e32 v0, 16, v0
	v_lshrrev_b32_e32 v110, 16, v110
	v_cmp_o_f32_e64 s3, v114, v114
	v_bfe_u32 v114, v107, 16, 1
	v_lshrrev_b32_e32 v109, 16, v109
	v_cndmask_b32_e64 v0, 0x7fc0, v0, s2
	v_cmp_o_f32_e64 s2, v115, v115
	v_bfe_u32 v115, v106, 16, 1
	v_lshrrev_b32_e32 v112, 16, v112
	v_add3_u32 v113, v105, v113, 0x7fff
	v_add3_u32 v114, v107, v114, 0x7fff
	v_cndmask_b32_e64 v110, 0x7fc0, v110, s2
	v_cmp_o_f32_e64 s2, v116, v116
	v_bfe_u32 v116, v108, 16, 1
	v_add3_u32 v115, v106, v115, 0x7fff
	v_cndmask_b32_e64 v109, 0x7fc0, v109, s3
	v_lshrrev_b32_e32 v113, 16, v113
	v_cndmask_b32_e64 v112, 0x7fc0, v112, s2
	v_add3_u32 v116, v108, v116, 0x7fff
	v_cmp_o_f32_e64 s3, v105, v105
	v_cmp_gt_i32_e64 s2, s11, v111
	v_lshrrev_b32_e32 v114, 16, v114
	v_lshrrev_b32_e32 v105, 16, v115
	;; [unrolled: 1-line block ×3, first 2 shown]
	v_cmp_o_f32_e64 s4, v107, v107
	v_cmp_o_f32_e64 s5, v108, v108
	;; [unrolled: 1-line block ×3, first 2 shown]
	v_cndmask_b32_e64 v106, 0x7fc0, v113, s3
	s_and_b32 s3, s7, s2
	v_cndmask_b32_e64 v107, 0x7fc0, v114, s4
	v_cndmask_b32_e64 v108, 0x7fc0, v115, s5
	;; [unrolled: 1-line block ×3, first 2 shown]
	v_add_lshl_u32 v111, v144, s8, 1
	v_cndmask_b32_e64 v113, 0x80000000, 0, s3
	s_and_b32 s1, s1, s2
	v_perm_b32 v108, v108, v107, 0x5040100
	v_perm_b32 v107, v105, v106, 0x5040100
	;; [unrolled: 1-line block ×4, first 2 shown]
	v_add_nc_u32_e32 v0, v111, v113
	v_cndmask_b32_e64 v72, 0x7fffffc0, v72, s1
	s_and_b32 s0, s0, s2
	s_delay_alu instid0(SALU_CYCLE_1)
	v_cndmask_b32_e64 v16, 0x7fffff80, v16, s0
	buffer_store_b128 v[105:108], v0, s[48:51], 0 offen
	s_waitcnt lgkmcnt(0)
	s_waitcnt_vscnt null, 0x0
	s_barrier
	ds_store_2addr_b32 v171, v89, v90 offset1:32
	ds_store_2addr_b32 v171, v91, v92 offset0:64 offset1:96
	ds_store_2addr_b32 v171, v93, v94 offset0:128 offset1:160
	;; [unrolled: 1-line block ×3, first 2 shown]
	s_waitcnt lgkmcnt(0)
	s_barrier
	ds_load_b128 v[89:92], v172
	ds_load_b128 v[93:96], v172 offset:16
	s_waitcnt lgkmcnt(1)
	v_bfe_u32 v0, v89, 16, 1
	v_bfe_u32 v98, v91, 16, 1
	v_cmp_o_f32_e64 s3, v89, v89
	s_waitcnt lgkmcnt(0)
	v_bfe_u32 v67, v93, 16, 1
	v_bfe_u32 v97, v90, 16, 1
	v_add3_u32 v0, v89, v0, 0x7fff
	v_add3_u32 v66, v91, v98, 0x7fff
	v_bfe_u32 v68, v92, 16, 1
	v_bfe_u32 v69, v94, 16, 1
	v_add3_u32 v67, v93, v67, 0x7fff
	v_lshrrev_b32_e32 v0, 16, v0
	v_lshrrev_b32_e32 v66, 16, v66
	v_bfe_u32 v70, v95, 16, 1
	v_bfe_u32 v71, v96, 16, 1
	v_add3_u32 v65, v90, v97, 0x7fff
	v_cndmask_b32_e64 v0, 0x7fc0, v0, s3
	v_cmp_o_f32_e64 s3, v91, v91
	v_add3_u32 v68, v92, v68, 0x7fff
	v_add3_u32 v69, v94, v69, 0x7fff
	v_lshrrev_b32_e32 v67, 16, v67
	v_add3_u32 v70, v95, v70, 0x7fff
	v_cndmask_b32_e64 v66, 0x7fc0, v66, s3
	v_cmp_o_f32_e64 s3, v93, v93
	v_add3_u32 v71, v96, v71, 0x7fff
	v_lshrrev_b32_e32 v65, 16, v65
	v_cmp_o_f32_e64 s4, v90, v90
	v_lshrrev_b32_e32 v68, 16, v68
	v_lshrrev_b32_e32 v69, 16, v69
	v_cndmask_b32_e64 v67, 0x7fc0, v67, s3
	v_lshrrev_b32_e32 v70, 16, v70
	v_cmp_o_f32_e64 s3, v94, v94
	v_cmp_o_f32_e64 s5, v95, v95
	v_lshrrev_b32_e32 v71, 16, v71
	v_cmp_o_f32_e64 s6, v96, v96
	v_cmp_o_f32_e64 s7, v92, v92
	v_cndmask_b32_e64 v69, 0x7fc0, v69, s3
	v_cndmask_b32_e64 v70, 0x7fc0, v70, s5
	;; [unrolled: 1-line block ×5, first 2 shown]
	v_perm_b32 v67, v69, v67, 0x5040100
	s_delay_alu instid0(VALU_DEP_4) | instskip(NEXT) | instid1(VALU_DEP_4)
	v_perm_b32 v65, v65, v0, 0x5040100
	v_perm_b32 v68, v71, v70, 0x5040100
	s_delay_alu instid0(VALU_DEP_4)
	v_perm_b32 v66, v81, v66, 0x5040100
	v_add_nc_u32_e32 v0, v72, v111
	buffer_store_b128 v[65:68], v0, s[48:51], 0 offen
	s_waitcnt lgkmcnt(0)
	s_waitcnt_vscnt null, 0x0
	s_barrier
	ds_store_2addr_b32 v171, v33, v34 offset1:32
	ds_store_2addr_b32 v171, v35, v36 offset0:64 offset1:96
	ds_store_2addr_b32 v171, v37, v38 offset0:128 offset1:160
	;; [unrolled: 1-line block ×3, first 2 shown]
	s_waitcnt lgkmcnt(0)
	s_barrier
	ds_load_b128 v[33:36], v172
	ds_load_b128 v[37:40], v172 offset:16
	s_waitcnt lgkmcnt(1)
	v_bfe_u32 v0, v33, 16, 1
	v_bfe_u32 v66, v35, 16, 1
	v_bfe_u32 v65, v34, 16, 1
	v_cmp_o_f32_e64 s1, v33, v33
	s_waitcnt lgkmcnt(0)
	v_bfe_u32 v11, v37, 16, 1
	v_add3_u32 v0, v33, v0, 0x7fff
	v_add3_u32 v10, v35, v66, 0x7fff
	;; [unrolled: 1-line block ×3, first 2 shown]
	v_bfe_u32 v12, v36, 16, 1
	v_bfe_u32 v13, v38, 16, 1
	v_lshrrev_b32_e32 v0, 16, v0
	v_lshrrev_b32_e32 v10, 16, v10
	v_add3_u32 v11, v37, v11, 0x7fff
	v_bfe_u32 v14, v39, 16, 1
	v_bfe_u32 v15, v40, 16, 1
	v_cndmask_b32_e64 v0, 0x7fc0, v0, s1
	v_cmp_o_f32_e64 s1, v35, v35
	v_lshrrev_b32_e32 v9, 16, v9
	v_cmp_o_f32_e64 s3, v34, v34
	v_add3_u32 v12, v36, v12, 0x7fff
	v_add3_u32 v13, v38, v13, 0x7fff
	v_cndmask_b32_e64 v10, 0x7fc0, v10, s1
	v_lshrrev_b32_e32 v11, 16, v11
	v_cmp_o_f32_e64 s1, v37, v37
	v_add3_u32 v14, v39, v14, 0x7fff
	v_add3_u32 v15, v40, v15, 0x7fff
	v_lshrrev_b32_e32 v12, 16, v12
	v_lshrrev_b32_e32 v13, 16, v13
	v_cndmask_b32_e64 v11, 0x7fc0, v11, s1
	v_lshrrev_b32_e32 v14, 16, v14
	v_cmp_o_f32_e64 s1, v38, v38
	v_cmp_o_f32_e64 s4, v39, v39
	v_lshrrev_b32_e32 v15, 16, v15
	v_cmp_o_f32_e64 s5, v40, v40
	v_cmp_o_f32_e64 s6, v36, v36
	v_cndmask_b32_e64 v9, 0x7fc0, v9, s3
	v_cndmask_b32_e64 v13, 0x7fc0, v13, s1
	;; [unrolled: 1-line block ×5, first 2 shown]
	v_perm_b32 v9, v9, v0, 0x5040100
	v_add_nc_u32_e32 v0, v16, v111
	v_wmma_f32_16x16x16_bf16 v[1:8], v[41:48], v[57:64], v[1:8]
	v_perm_b32 v12, v15, v14, 0x5040100
	v_perm_b32 v11, v13, v11, 0x5040100
	;; [unrolled: 1-line block ×3, first 2 shown]
	s_delay_alu instid0(VALU_DEP_4)
	v_wmma_f32_16x16x16_bf16 v[1:8], v[49:56], v[17:24], v[1:8]
	buffer_store_b128 v[9:12], v0, s[48:51], 0 offen
	s_waitcnt lgkmcnt(0)
	s_waitcnt_vscnt null, 0x0
	s_barrier
	ds_store_2addr_b32 v171, v1, v2 offset1:32
	ds_store_2addr_b32 v171, v3, v4 offset0:64 offset1:96
	ds_store_2addr_b32 v171, v5, v6 offset0:128 offset1:160
	;; [unrolled: 1-line block ×3, first 2 shown]
	s_waitcnt lgkmcnt(0)
	s_barrier
	ds_load_b128 v[0:3], v172
	ds_load_b128 v[4:7], v172 offset:16
	v_add_nc_u32_e32 v11, s8, v169
	s_waitcnt lgkmcnt(1)
	v_bfe_u32 v8, v0, 16, 1
	v_bfe_u32 v9, v1, 16, 1
	;; [unrolled: 1-line block ×3, first 2 shown]
	v_cmp_o_f32_e64 s0, v0, v0
	v_cmp_o_f32_e64 s1, v2, v2
	v_add3_u32 v8, v0, v8, 0x7fff
	v_add3_u32 v9, v1, v9, 0x7fff
	;; [unrolled: 1-line block ×3, first 2 shown]
	v_bfe_u32 v2, v3, 16, 1
	s_waitcnt lgkmcnt(0)
	v_bfe_u32 v12, v6, 16, 1
	v_lshrrev_b32_e32 v8, 16, v8
	v_lshrrev_b32_e32 v0, 16, v9
	;; [unrolled: 1-line block ×3, first 2 shown]
	v_bfe_u32 v10, v5, 16, 1
	v_bfe_u32 v13, v7, 16, 1
	v_cndmask_b32_e64 v8, 0x7fc0, v8, s0
	v_cmp_o_f32_e64 s0, v1, v1
	v_bfe_u32 v1, v4, 16, 1
	v_add3_u32 v2, v3, v2, 0x7fff
	v_add3_u32 v10, v5, v10, 0x7fff
	;; [unrolled: 1-line block ×5, first 2 shown]
	v_cndmask_b32_e64 v9, 0x7fc0, v9, s1
	v_cmp_o_f32_e64 s1, v4, v4
	v_lshrrev_b32_e32 v2, 16, v2
	v_lshrrev_b32_e32 v10, 16, v10
	;; [unrolled: 1-line block ×5, first 2 shown]
	v_cmp_o_f32_e64 s3, v5, v5
	v_cmp_o_f32_e64 s4, v6, v6
	;; [unrolled: 1-line block ×4, first 2 shown]
	v_cndmask_b32_e64 v1, 0x7fc0, v1, s1
	s_and_b32 s1, vcc_lo, s2
	v_cndmask_b32_e64 v5, 0x7fc0, v10, s3
	v_cndmask_b32_e64 v3, 0x7fc0, v4, s4
	v_cndmask_b32_e64 v4, 0x7fc0, v12, s5
	v_cndmask_b32_e64 v6, 0x7fc0, v2, s6
	v_cndmask_b32_e64 v0, 0x7fc0, v0, s0
	v_cndmask_b32_e64 v7, 0x80000000, 0, s1
	v_perm_b32 v2, v5, v1, 0x5040100
	v_perm_b32 v3, v4, v3, 0x5040100
	;; [unrolled: 1-line block ×4, first 2 shown]
	v_lshl_add_u32 v4, v11, 1, v7
	buffer_store_b128 v[0:3], v4, s[48:51], 0 offen
	s_nop 0
	s_sendmsg sendmsg(MSG_DEALLOC_VGPRS)
	s_endpgm
	.section	.rodata,"a",@progbits
	.p2align	6, 0x0
	.amdhsa_kernel _ZN2ck16kernel_gemm_wmmaINS_17GridwiseGemm_WmmaILi128EttfftLNS_25InMemoryDataOperationEnumE0ENS_16TensorDescriptorINS_5TupleIJNS_5EmbedINS4_IJiiEEENS4_IJiNS_17integral_constantIiLi1EEEEEELb0EEENS_8RightPadIiiLb0EEESC_NS_7UnMergeINS4_IJiNS7_IiLi2EEEEEELb0EEENS_11PassThroughIiEEEEENS4_IJNS_8SequenceIJLi0EEEENSK_IJLi1EEEENSK_IJLi2EEEENSK_IJLi4EEEENSK_IJLi3EEEEEEENS4_IJNSK_IJLi1ELi2EEEESP_SO_NSK_IJLi5ELi6EEEENSK_IJLi7EEEEEEENSK_IJLi5ELi7ELi6EEEElEESW_NS3_INS4_IJSA_SC_SC_EEENS4_IJSL_SM_SN_EEENS4_IJSR_SP_SO_EEENSK_IJLi3ELi4EEEElEENS_16tensor_operation12element_wise11PassThroughES14_S14_Li64ELi128ELi64ELi16ELi16ELi2ELi2ELi4ENSK_IJLi4ELi32ELi1EEEENSK_IJLi1ELi0ELi2EEEES16_Li2ELi2ELi2ELb0ELb1ELb1ES15_S16_S16_Li2ELi2ELi2ELb0ELb1ELb1ELi1ELi1ENSK_IJLi1ELi32ELi1ELi4EEEELi8ELi1ELNS_13LoopSchedulerE0ELNS_15PipelineVersionE0EEEtttSW_SW_NS3_INS4_IJSA_SC_SC_NSD_INS4_IJiNS7_IiLi64EEEEEELb0EEENSD_INS4_IJiNS7_IiLi128EEEEEELb0EEEEEENS4_IJSL_SM_SN_SP_SO_EEENS4_IJSR_SP_SO_SS_NSK_IJLi7ELi8EEEEEEENSK_IJLi5ELi6ELi7ELi8EEEElEES14_S14_S14_NS_31BlockToCTileMap_M00_N0_M01AdaptILi64ELi128ES11_iEELb0EEEvPKT0_PKT1_PT2_T3_T4_T5_T6_T7_T8_T9_
		.amdhsa_group_segment_fixed_size 24824
		.amdhsa_private_segment_fixed_size 0
		.amdhsa_kernarg_size 264
		.amdhsa_user_sgpr_count 15
		.amdhsa_user_sgpr_dispatch_ptr 0
		.amdhsa_user_sgpr_queue_ptr 0
		.amdhsa_user_sgpr_kernarg_segment_ptr 1
		.amdhsa_user_sgpr_dispatch_id 0
		.amdhsa_user_sgpr_private_segment_size 0
		.amdhsa_wavefront_size32 1
		.amdhsa_uses_dynamic_stack 0
		.amdhsa_enable_private_segment 0
		.amdhsa_system_sgpr_workgroup_id_x 1
		.amdhsa_system_sgpr_workgroup_id_y 0
		.amdhsa_system_sgpr_workgroup_id_z 0
		.amdhsa_system_sgpr_workgroup_info 0
		.amdhsa_system_vgpr_workitem_id 0
		.amdhsa_next_free_vgpr 188
		.amdhsa_next_free_sgpr 54
		.amdhsa_reserve_vcc 1
		.amdhsa_float_round_mode_32 0
		.amdhsa_float_round_mode_16_64 0
		.amdhsa_float_denorm_mode_32 3
		.amdhsa_float_denorm_mode_16_64 3
		.amdhsa_dx10_clamp 1
		.amdhsa_ieee_mode 1
		.amdhsa_fp16_overflow 0
		.amdhsa_workgroup_processor_mode 1
		.amdhsa_memory_ordered 1
		.amdhsa_forward_progress 0
		.amdhsa_shared_vgpr_count 0
		.amdhsa_exception_fp_ieee_invalid_op 0
		.amdhsa_exception_fp_denorm_src 0
		.amdhsa_exception_fp_ieee_div_zero 0
		.amdhsa_exception_fp_ieee_overflow 0
		.amdhsa_exception_fp_ieee_underflow 0
		.amdhsa_exception_fp_ieee_inexact 0
		.amdhsa_exception_int_div_zero 0
	.end_amdhsa_kernel
	.section	.text._ZN2ck16kernel_gemm_wmmaINS_17GridwiseGemm_WmmaILi128EttfftLNS_25InMemoryDataOperationEnumE0ENS_16TensorDescriptorINS_5TupleIJNS_5EmbedINS4_IJiiEEENS4_IJiNS_17integral_constantIiLi1EEEEEELb0EEENS_8RightPadIiiLb0EEESC_NS_7UnMergeINS4_IJiNS7_IiLi2EEEEEELb0EEENS_11PassThroughIiEEEEENS4_IJNS_8SequenceIJLi0EEEENSK_IJLi1EEEENSK_IJLi2EEEENSK_IJLi4EEEENSK_IJLi3EEEEEEENS4_IJNSK_IJLi1ELi2EEEESP_SO_NSK_IJLi5ELi6EEEENSK_IJLi7EEEEEEENSK_IJLi5ELi7ELi6EEEElEESW_NS3_INS4_IJSA_SC_SC_EEENS4_IJSL_SM_SN_EEENS4_IJSR_SP_SO_EEENSK_IJLi3ELi4EEEElEENS_16tensor_operation12element_wise11PassThroughES14_S14_Li64ELi128ELi64ELi16ELi16ELi2ELi2ELi4ENSK_IJLi4ELi32ELi1EEEENSK_IJLi1ELi0ELi2EEEES16_Li2ELi2ELi2ELb0ELb1ELb1ES15_S16_S16_Li2ELi2ELi2ELb0ELb1ELb1ELi1ELi1ENSK_IJLi1ELi32ELi1ELi4EEEELi8ELi1ELNS_13LoopSchedulerE0ELNS_15PipelineVersionE0EEEtttSW_SW_NS3_INS4_IJSA_SC_SC_NSD_INS4_IJiNS7_IiLi64EEEEEELb0EEENSD_INS4_IJiNS7_IiLi128EEEEEELb0EEEEEENS4_IJSL_SM_SN_SP_SO_EEENS4_IJSR_SP_SO_SS_NSK_IJLi7ELi8EEEEEEENSK_IJLi5ELi6ELi7ELi8EEEElEES14_S14_S14_NS_31BlockToCTileMap_M00_N0_M01AdaptILi64ELi128ES11_iEELb0EEEvPKT0_PKT1_PT2_T3_T4_T5_T6_T7_T8_T9_,"axG",@progbits,_ZN2ck16kernel_gemm_wmmaINS_17GridwiseGemm_WmmaILi128EttfftLNS_25InMemoryDataOperationEnumE0ENS_16TensorDescriptorINS_5TupleIJNS_5EmbedINS4_IJiiEEENS4_IJiNS_17integral_constantIiLi1EEEEEELb0EEENS_8RightPadIiiLb0EEESC_NS_7UnMergeINS4_IJiNS7_IiLi2EEEEEELb0EEENS_11PassThroughIiEEEEENS4_IJNS_8SequenceIJLi0EEEENSK_IJLi1EEEENSK_IJLi2EEEENSK_IJLi4EEEENSK_IJLi3EEEEEEENS4_IJNSK_IJLi1ELi2EEEESP_SO_NSK_IJLi5ELi6EEEENSK_IJLi7EEEEEEENSK_IJLi5ELi7ELi6EEEElEESW_NS3_INS4_IJSA_SC_SC_EEENS4_IJSL_SM_SN_EEENS4_IJSR_SP_SO_EEENSK_IJLi3ELi4EEEElEENS_16tensor_operation12element_wise11PassThroughES14_S14_Li64ELi128ELi64ELi16ELi16ELi2ELi2ELi4ENSK_IJLi4ELi32ELi1EEEENSK_IJLi1ELi0ELi2EEEES16_Li2ELi2ELi2ELb0ELb1ELb1ES15_S16_S16_Li2ELi2ELi2ELb0ELb1ELb1ELi1ELi1ENSK_IJLi1ELi32ELi1ELi4EEEELi8ELi1ELNS_13LoopSchedulerE0ELNS_15PipelineVersionE0EEEtttSW_SW_NS3_INS4_IJSA_SC_SC_NSD_INS4_IJiNS7_IiLi64EEEEEELb0EEENSD_INS4_IJiNS7_IiLi128EEEEEELb0EEEEEENS4_IJSL_SM_SN_SP_SO_EEENS4_IJSR_SP_SO_SS_NSK_IJLi7ELi8EEEEEEENSK_IJLi5ELi6ELi7ELi8EEEElEES14_S14_S14_NS_31BlockToCTileMap_M00_N0_M01AdaptILi64ELi128ES11_iEELb0EEEvPKT0_PKT1_PT2_T3_T4_T5_T6_T7_T8_T9_,comdat
.Lfunc_end2:
	.size	_ZN2ck16kernel_gemm_wmmaINS_17GridwiseGemm_WmmaILi128EttfftLNS_25InMemoryDataOperationEnumE0ENS_16TensorDescriptorINS_5TupleIJNS_5EmbedINS4_IJiiEEENS4_IJiNS_17integral_constantIiLi1EEEEEELb0EEENS_8RightPadIiiLb0EEESC_NS_7UnMergeINS4_IJiNS7_IiLi2EEEEEELb0EEENS_11PassThroughIiEEEEENS4_IJNS_8SequenceIJLi0EEEENSK_IJLi1EEEENSK_IJLi2EEEENSK_IJLi4EEEENSK_IJLi3EEEEEEENS4_IJNSK_IJLi1ELi2EEEESP_SO_NSK_IJLi5ELi6EEEENSK_IJLi7EEEEEEENSK_IJLi5ELi7ELi6EEEElEESW_NS3_INS4_IJSA_SC_SC_EEENS4_IJSL_SM_SN_EEENS4_IJSR_SP_SO_EEENSK_IJLi3ELi4EEEElEENS_16tensor_operation12element_wise11PassThroughES14_S14_Li64ELi128ELi64ELi16ELi16ELi2ELi2ELi4ENSK_IJLi4ELi32ELi1EEEENSK_IJLi1ELi0ELi2EEEES16_Li2ELi2ELi2ELb0ELb1ELb1ES15_S16_S16_Li2ELi2ELi2ELb0ELb1ELb1ELi1ELi1ENSK_IJLi1ELi32ELi1ELi4EEEELi8ELi1ELNS_13LoopSchedulerE0ELNS_15PipelineVersionE0EEEtttSW_SW_NS3_INS4_IJSA_SC_SC_NSD_INS4_IJiNS7_IiLi64EEEEEELb0EEENSD_INS4_IJiNS7_IiLi128EEEEEELb0EEEEEENS4_IJSL_SM_SN_SP_SO_EEENS4_IJSR_SP_SO_SS_NSK_IJLi7ELi8EEEEEEENSK_IJLi5ELi6ELi7ELi8EEEElEES14_S14_S14_NS_31BlockToCTileMap_M00_N0_M01AdaptILi64ELi128ES11_iEELb0EEEvPKT0_PKT1_PT2_T3_T4_T5_T6_T7_T8_T9_, .Lfunc_end2-_ZN2ck16kernel_gemm_wmmaINS_17GridwiseGemm_WmmaILi128EttfftLNS_25InMemoryDataOperationEnumE0ENS_16TensorDescriptorINS_5TupleIJNS_5EmbedINS4_IJiiEEENS4_IJiNS_17integral_constantIiLi1EEEEEELb0EEENS_8RightPadIiiLb0EEESC_NS_7UnMergeINS4_IJiNS7_IiLi2EEEEEELb0EEENS_11PassThroughIiEEEEENS4_IJNS_8SequenceIJLi0EEEENSK_IJLi1EEEENSK_IJLi2EEEENSK_IJLi4EEEENSK_IJLi3EEEEEEENS4_IJNSK_IJLi1ELi2EEEESP_SO_NSK_IJLi5ELi6EEEENSK_IJLi7EEEEEEENSK_IJLi5ELi7ELi6EEEElEESW_NS3_INS4_IJSA_SC_SC_EEENS4_IJSL_SM_SN_EEENS4_IJSR_SP_SO_EEENSK_IJLi3ELi4EEEElEENS_16tensor_operation12element_wise11PassThroughES14_S14_Li64ELi128ELi64ELi16ELi16ELi2ELi2ELi4ENSK_IJLi4ELi32ELi1EEEENSK_IJLi1ELi0ELi2EEEES16_Li2ELi2ELi2ELb0ELb1ELb1ES15_S16_S16_Li2ELi2ELi2ELb0ELb1ELb1ELi1ELi1ENSK_IJLi1ELi32ELi1ELi4EEEELi8ELi1ELNS_13LoopSchedulerE0ELNS_15PipelineVersionE0EEEtttSW_SW_NS3_INS4_IJSA_SC_SC_NSD_INS4_IJiNS7_IiLi64EEEEEELb0EEENSD_INS4_IJiNS7_IiLi128EEEEEELb0EEEEEENS4_IJSL_SM_SN_SP_SO_EEENS4_IJSR_SP_SO_SS_NSK_IJLi7ELi8EEEEEEENSK_IJLi5ELi6ELi7ELi8EEEElEES14_S14_S14_NS_31BlockToCTileMap_M00_N0_M01AdaptILi64ELi128ES11_iEELb0EEEvPKT0_PKT1_PT2_T3_T4_T5_T6_T7_T8_T9_
                                        ; -- End function
	.section	.AMDGPU.csdata,"",@progbits
; Kernel info:
; codeLenInByte = 9136
; NumSgprs: 56
; NumVgprs: 188
; ScratchSize: 0
; MemoryBound: 0
; FloatMode: 240
; IeeeMode: 1
; LDSByteSize: 24824 bytes/workgroup (compile time only)
; SGPRBlocks: 6
; VGPRBlocks: 23
; NumSGPRsForWavesPerEU: 56
; NumVGPRsForWavesPerEU: 188
; Occupancy: 8
; WaveLimiterHint : 0
; COMPUTE_PGM_RSRC2:SCRATCH_EN: 0
; COMPUTE_PGM_RSRC2:USER_SGPR: 15
; COMPUTE_PGM_RSRC2:TRAP_HANDLER: 0
; COMPUTE_PGM_RSRC2:TGID_X_EN: 1
; COMPUTE_PGM_RSRC2:TGID_Y_EN: 0
; COMPUTE_PGM_RSRC2:TGID_Z_EN: 0
; COMPUTE_PGM_RSRC2:TIDIG_COMP_CNT: 0
	.section	.text._ZN2ck17naive_gemm_kernelINS_13tensor_layout4gemm8RowMajorENS2_11ColumnMajorES3_tttfNS_16tensor_operation12element_wise11PassThroughES7_S7_ttEEvPKT2_PKT3_PT4_iiiT6_T7_T8_,"axG",@progbits,_ZN2ck17naive_gemm_kernelINS_13tensor_layout4gemm8RowMajorENS2_11ColumnMajorES3_tttfNS_16tensor_operation12element_wise11PassThroughES7_S7_ttEEvPKT2_PKT3_PT4_iiiT6_T7_T8_,comdat
	.protected	_ZN2ck17naive_gemm_kernelINS_13tensor_layout4gemm8RowMajorENS2_11ColumnMajorES3_tttfNS_16tensor_operation12element_wise11PassThroughES7_S7_ttEEvPKT2_PKT3_PT4_iiiT6_T7_T8_ ; -- Begin function _ZN2ck17naive_gemm_kernelINS_13tensor_layout4gemm8RowMajorENS2_11ColumnMajorES3_tttfNS_16tensor_operation12element_wise11PassThroughES7_S7_ttEEvPKT2_PKT3_PT4_iiiT6_T7_T8_
	.globl	_ZN2ck17naive_gemm_kernelINS_13tensor_layout4gemm8RowMajorENS2_11ColumnMajorES3_tttfNS_16tensor_operation12element_wise11PassThroughES7_S7_ttEEvPKT2_PKT3_PT4_iiiT6_T7_T8_
	.p2align	8
	.type	_ZN2ck17naive_gemm_kernelINS_13tensor_layout4gemm8RowMajorENS2_11ColumnMajorES3_tttfNS_16tensor_operation12element_wise11PassThroughES7_S7_ttEEvPKT2_PKT3_PT4_iiiT6_T7_T8_,@function
_ZN2ck17naive_gemm_kernelINS_13tensor_layout4gemm8RowMajorENS2_11ColumnMajorES3_tttfNS_16tensor_operation12element_wise11PassThroughES7_S7_ttEEvPKT2_PKT3_PT4_iiiT6_T7_T8_: ; @_ZN2ck17naive_gemm_kernelINS_13tensor_layout4gemm8RowMajorENS2_11ColumnMajorES3_tttfNS_16tensor_operation12element_wise11PassThroughES7_S7_ttEEvPKT2_PKT3_PT4_iiiT6_T7_T8_
; %bb.0:
	s_clause 0x1
	s_load_b32 s2, s[0:1], 0x34
	s_load_b128 s[4:7], s[0:1], 0x18
	v_and_b32_e32 v2, 0x3ff, v0
	v_bfe_u32 v3, v0, 10, 10
	s_waitcnt lgkmcnt(0)
	s_lshr_b32 s3, s2, 16
	s_and_b32 s2, s2, 0xffff
	s_delay_alu instid0(VALU_DEP_1) | instid1(SALU_CYCLE_1)
	v_mad_u64_u32 v[0:1], null, s14, s2, v[2:3]
	v_mad_u64_u32 v[1:2], null, s15, s3, v[3:4]
	s_delay_alu instid0(VALU_DEP_2) | instskip(NEXT) | instid1(VALU_DEP_2)
	v_cmp_gt_i32_e32 vcc_lo, s4, v0
	v_cmp_gt_i32_e64 s2, s5, v1
	s_delay_alu instid0(VALU_DEP_1) | instskip(NEXT) | instid1(SALU_CYCLE_1)
	s_and_b32 s2, vcc_lo, s2
	s_and_saveexec_b32 s3, s2
	s_cbranch_execz .LBB3_6
; %bb.1:
	s_load_b64 s[2:3], s[0:1], 0x10
	s_cmp_lt_i32 s6, 1
	s_cbranch_scc1 .LBB3_4
; %bb.2:
	s_load_b128 s[8:11], s[0:1], 0x0
	v_mul_lo_u32 v2, v1, s6
	v_mul_lo_u32 v4, v0, s6
	v_mov_b32_e32 v6, 0
	s_delay_alu instid0(VALU_DEP_3) | instskip(NEXT) | instid1(VALU_DEP_3)
	v_ashrrev_i32_e32 v3, 31, v2
	v_ashrrev_i32_e32 v5, 31, v4
	s_delay_alu instid0(VALU_DEP_2) | instskip(NEXT) | instid1(VALU_DEP_2)
	v_lshlrev_b64 v[2:3], 1, v[2:3]
	v_lshlrev_b64 v[4:5], 1, v[4:5]
	s_waitcnt lgkmcnt(0)
	s_delay_alu instid0(VALU_DEP_2) | instskip(NEXT) | instid1(VALU_DEP_3)
	v_add_co_u32 v2, vcc_lo, s10, v2
	v_add_co_ci_u32_e32 v3, vcc_lo, s11, v3, vcc_lo
	s_delay_alu instid0(VALU_DEP_3) | instskip(NEXT) | instid1(VALU_DEP_4)
	v_add_co_u32 v4, vcc_lo, s8, v4
	v_add_co_ci_u32_e32 v5, vcc_lo, s9, v5, vcc_lo
	.p2align	6
.LBB3_3:                                ; =>This Inner Loop Header: Depth=1
	global_load_u16 v7, v[2:3], off
	global_load_u16 v8, v[4:5], off
	v_add_co_u32 v2, vcc_lo, v2, 2
	v_add_co_ci_u32_e32 v3, vcc_lo, 0, v3, vcc_lo
	v_add_co_u32 v4, vcc_lo, v4, 2
	v_add_co_ci_u32_e32 v5, vcc_lo, 0, v5, vcc_lo
	s_add_i32 s6, s6, -1
	s_delay_alu instid0(SALU_CYCLE_1) | instskip(SKIP_4) | instid1(VALU_DEP_1)
	s_cmp_eq_u32 s6, 0
	s_waitcnt vmcnt(1)
	v_lshlrev_b32_e32 v7, 16, v7
	s_waitcnt vmcnt(0)
	v_lshlrev_b32_e32 v8, 16, v8
	v_fmac_f32_e32 v6, v8, v7
	s_cbranch_scc0 .LBB3_3
	s_branch .LBB3_5
.LBB3_4:
	v_mov_b32_e32 v6, 0
.LBB3_5:
	v_mad_u64_u32 v[2:3], null, v0, s5, v[1:2]
	s_delay_alu instid0(VALU_DEP_2) | instskip(SKIP_1) | instid1(VALU_DEP_2)
	v_bfe_u32 v0, v6, 16, 1
	v_cmp_o_f32_e32 vcc_lo, v6, v6
	v_add3_u32 v0, v6, v0, 0x7fff
	s_delay_alu instid0(VALU_DEP_4) | instskip(NEXT) | instid1(VALU_DEP_2)
	v_ashrrev_i32_e32 v3, 31, v2
	v_lshrrev_b32_e32 v4, 16, v0
	s_delay_alu instid0(VALU_DEP_2) | instskip(NEXT) | instid1(VALU_DEP_2)
	v_lshlrev_b64 v[0:1], 1, v[2:3]
	v_cndmask_b32_e32 v2, 0x7fc0, v4, vcc_lo
	s_waitcnt lgkmcnt(0)
	s_delay_alu instid0(VALU_DEP_2) | instskip(NEXT) | instid1(VALU_DEP_3)
	v_add_co_u32 v0, vcc_lo, s2, v0
	v_add_co_ci_u32_e32 v1, vcc_lo, s3, v1, vcc_lo
	global_store_b16 v[0:1], v2, off
.LBB3_6:
	s_nop 0
	s_sendmsg sendmsg(MSG_DEALLOC_VGPRS)
	s_endpgm
	.section	.rodata,"a",@progbits
	.p2align	6, 0x0
	.amdhsa_kernel _ZN2ck17naive_gemm_kernelINS_13tensor_layout4gemm8RowMajorENS2_11ColumnMajorES3_tttfNS_16tensor_operation12element_wise11PassThroughES7_S7_ttEEvPKT2_PKT3_PT4_iiiT6_T7_T8_
		.amdhsa_group_segment_fixed_size 0
		.amdhsa_private_segment_fixed_size 0
		.amdhsa_kernarg_size 296
		.amdhsa_user_sgpr_count 14
		.amdhsa_user_sgpr_dispatch_ptr 0
		.amdhsa_user_sgpr_queue_ptr 0
		.amdhsa_user_sgpr_kernarg_segment_ptr 1
		.amdhsa_user_sgpr_dispatch_id 0
		.amdhsa_user_sgpr_private_segment_size 0
		.amdhsa_wavefront_size32 1
		.amdhsa_uses_dynamic_stack 0
		.amdhsa_enable_private_segment 0
		.amdhsa_system_sgpr_workgroup_id_x 1
		.amdhsa_system_sgpr_workgroup_id_y 1
		.amdhsa_system_sgpr_workgroup_id_z 0
		.amdhsa_system_sgpr_workgroup_info 0
		.amdhsa_system_vgpr_workitem_id 1
		.amdhsa_next_free_vgpr 9
		.amdhsa_next_free_sgpr 16
		.amdhsa_reserve_vcc 1
		.amdhsa_float_round_mode_32 0
		.amdhsa_float_round_mode_16_64 0
		.amdhsa_float_denorm_mode_32 3
		.amdhsa_float_denorm_mode_16_64 3
		.amdhsa_dx10_clamp 1
		.amdhsa_ieee_mode 1
		.amdhsa_fp16_overflow 0
		.amdhsa_workgroup_processor_mode 1
		.amdhsa_memory_ordered 1
		.amdhsa_forward_progress 0
		.amdhsa_shared_vgpr_count 0
		.amdhsa_exception_fp_ieee_invalid_op 0
		.amdhsa_exception_fp_denorm_src 0
		.amdhsa_exception_fp_ieee_div_zero 0
		.amdhsa_exception_fp_ieee_overflow 0
		.amdhsa_exception_fp_ieee_underflow 0
		.amdhsa_exception_fp_ieee_inexact 0
		.amdhsa_exception_int_div_zero 0
	.end_amdhsa_kernel
	.section	.text._ZN2ck17naive_gemm_kernelINS_13tensor_layout4gemm8RowMajorENS2_11ColumnMajorES3_tttfNS_16tensor_operation12element_wise11PassThroughES7_S7_ttEEvPKT2_PKT3_PT4_iiiT6_T7_T8_,"axG",@progbits,_ZN2ck17naive_gemm_kernelINS_13tensor_layout4gemm8RowMajorENS2_11ColumnMajorES3_tttfNS_16tensor_operation12element_wise11PassThroughES7_S7_ttEEvPKT2_PKT3_PT4_iiiT6_T7_T8_,comdat
.Lfunc_end3:
	.size	_ZN2ck17naive_gemm_kernelINS_13tensor_layout4gemm8RowMajorENS2_11ColumnMajorES3_tttfNS_16tensor_operation12element_wise11PassThroughES7_S7_ttEEvPKT2_PKT3_PT4_iiiT6_T7_T8_, .Lfunc_end3-_ZN2ck17naive_gemm_kernelINS_13tensor_layout4gemm8RowMajorENS2_11ColumnMajorES3_tttfNS_16tensor_operation12element_wise11PassThroughES7_S7_ttEEvPKT2_PKT3_PT4_iiiT6_T7_T8_
                                        ; -- End function
	.section	.AMDGPU.csdata,"",@progbits
; Kernel info:
; codeLenInByte = 408
; NumSgprs: 18
; NumVgprs: 9
; ScratchSize: 0
; MemoryBound: 0
; FloatMode: 240
; IeeeMode: 1
; LDSByteSize: 0 bytes/workgroup (compile time only)
; SGPRBlocks: 2
; VGPRBlocks: 1
; NumSGPRsForWavesPerEU: 18
; NumVGPRsForWavesPerEU: 9
; Occupancy: 16
; WaveLimiterHint : 0
; COMPUTE_PGM_RSRC2:SCRATCH_EN: 0
; COMPUTE_PGM_RSRC2:USER_SGPR: 14
; COMPUTE_PGM_RSRC2:TRAP_HANDLER: 0
; COMPUTE_PGM_RSRC2:TGID_X_EN: 1
; COMPUTE_PGM_RSRC2:TGID_Y_EN: 1
; COMPUTE_PGM_RSRC2:TGID_Z_EN: 0
; COMPUTE_PGM_RSRC2:TIDIG_COMP_CNT: 1
	.text
	.p2alignl 7, 3214868480
	.fill 96, 4, 3214868480
	.type	__hip_cuid_e0f48169f80499,@object ; @__hip_cuid_e0f48169f80499
	.section	.bss,"aw",@nobits
	.globl	__hip_cuid_e0f48169f80499
__hip_cuid_e0f48169f80499:
	.byte	0                               ; 0x0
	.size	__hip_cuid_e0f48169f80499, 1

	.ident	"AMD clang version 19.0.0git (https://github.com/RadeonOpenCompute/llvm-project roc-6.4.0 25133 c7fe45cf4b819c5991fe208aaa96edf142730f1d)"
	.section	".note.GNU-stack","",@progbits
	.addrsig
	.addrsig_sym __hip_cuid_e0f48169f80499
	.amdgpu_metadata
---
amdhsa.kernels:
  - .args:           []
    .group_segment_fixed_size: 0
    .kernarg_segment_align: 4
    .kernarg_segment_size: 0
    .language:       OpenCL C
    .language_version:
      - 2
      - 0
    .max_flat_workgroup_size: 1024
    .name:           _ZN2ckL12flush_icacheEv
    .private_segment_fixed_size: 0
    .sgpr_count:     0
    .sgpr_spill_count: 0
    .symbol:         _ZN2ckL12flush_icacheEv.kd
    .uniform_work_group_size: 1
    .uses_dynamic_stack: false
    .vgpr_count:     0
    .vgpr_spill_count: 0
    .wavefront_size: 32
    .workgroup_processor_mode: 1
  - .args:
      - .address_space:  global
        .offset:         0
        .size:           8
        .value_kind:     global_buffer
      - .address_space:  global
        .offset:         8
        .size:           8
        .value_kind:     global_buffer
      - .address_space:  global
        .offset:         16
        .size:           8
        .value_kind:     global_buffer
      - .offset:         24
        .size:           72
        .value_kind:     by_value
      - .offset:         96
        .size:           72
        .value_kind:     by_value
      - .offset:         168
        .size:           80
        .value_kind:     by_value
      - .offset:         248
        .size:           1
        .value_kind:     by_value
      - .offset:         249
        .size:           1
        .value_kind:     by_value
      - .offset:         250
        .size:           1
        .value_kind:     by_value
      - .offset:         252
        .size:           12
        .value_kind:     by_value
    .group_segment_fixed_size: 24824
    .kernarg_segment_align: 8
    .kernarg_segment_size: 264
    .language:       OpenCL C
    .language_version:
      - 2
      - 0
    .max_flat_workgroup_size: 256
    .name:           _ZN2ck16kernel_gemm_wmmaINS_17GridwiseGemm_WmmaILi128EttfftLNS_25InMemoryDataOperationEnumE0ENS_16TensorDescriptorINS_5TupleIJNS_5EmbedINS4_IJiiEEENS4_IJiNS_17integral_constantIiLi1EEEEEELb0EEENS_8RightPadIiiLb0EEESC_NS_7UnMergeINS4_IJiNS7_IiLi2EEEEEELb0EEENS_11PassThroughIiEEEEENS4_IJNS_8SequenceIJLi0EEEENSK_IJLi1EEEENSK_IJLi2EEEENSK_IJLi4EEEENSK_IJLi3EEEEEEENS4_IJNSK_IJLi1ELi2EEEESP_SO_NSK_IJLi5ELi6EEEENSK_IJLi7EEEEEEENSK_IJLi5ELi7ELi6EEEElEESW_NS3_INS4_IJSA_SC_SC_EEENS4_IJSL_SM_SN_EEENS4_IJSR_SP_SO_EEENSK_IJLi3ELi4EEEElEENS_16tensor_operation12element_wise11PassThroughES14_S14_Li64ELi128ELi64ELi16ELi16ELi2ELi2ELi4ENSK_IJLi4ELi32ELi1EEEENSK_IJLi1ELi0ELi2EEEES16_Li2ELi2ELi2ELb0ELb1ELb1ES15_S16_S16_Li2ELi2ELi2ELb0ELb1ELb1ELi1ELi1ENSK_IJLi1ELi32ELi1ELi4EEEELi8ELi1ELNS_13LoopSchedulerE0ELNS_15PipelineVersionE0EEEtttSW_SW_NS3_INS4_IJSA_SC_SC_NSD_INS4_IJiNS7_IiLi64EEEEEELb0EEENSD_INS4_IJiNS7_IiLi128EEEEEELb0EEEEEENS4_IJSL_SM_SN_SP_SO_EEENS4_IJSR_SP_SO_SS_NSK_IJLi7ELi8EEEEEEENSK_IJLi5ELi6ELi7ELi8EEEElEES14_S14_S14_NS_31BlockToCTileMap_M00_N0_M01AdaptILi64ELi128ES11_iEELb1EEEvPKT0_PKT1_PT2_T3_T4_T5_T6_T7_T8_T9_
    .private_segment_fixed_size: 0
    .sgpr_count:     45
    .sgpr_spill_count: 0
    .symbol:         _ZN2ck16kernel_gemm_wmmaINS_17GridwiseGemm_WmmaILi128EttfftLNS_25InMemoryDataOperationEnumE0ENS_16TensorDescriptorINS_5TupleIJNS_5EmbedINS4_IJiiEEENS4_IJiNS_17integral_constantIiLi1EEEEEELb0EEENS_8RightPadIiiLb0EEESC_NS_7UnMergeINS4_IJiNS7_IiLi2EEEEEELb0EEENS_11PassThroughIiEEEEENS4_IJNS_8SequenceIJLi0EEEENSK_IJLi1EEEENSK_IJLi2EEEENSK_IJLi4EEEENSK_IJLi3EEEEEEENS4_IJNSK_IJLi1ELi2EEEESP_SO_NSK_IJLi5ELi6EEEENSK_IJLi7EEEEEEENSK_IJLi5ELi7ELi6EEEElEESW_NS3_INS4_IJSA_SC_SC_EEENS4_IJSL_SM_SN_EEENS4_IJSR_SP_SO_EEENSK_IJLi3ELi4EEEElEENS_16tensor_operation12element_wise11PassThroughES14_S14_Li64ELi128ELi64ELi16ELi16ELi2ELi2ELi4ENSK_IJLi4ELi32ELi1EEEENSK_IJLi1ELi0ELi2EEEES16_Li2ELi2ELi2ELb0ELb1ELb1ES15_S16_S16_Li2ELi2ELi2ELb0ELb1ELb1ELi1ELi1ENSK_IJLi1ELi32ELi1ELi4EEEELi8ELi1ELNS_13LoopSchedulerE0ELNS_15PipelineVersionE0EEEtttSW_SW_NS3_INS4_IJSA_SC_SC_NSD_INS4_IJiNS7_IiLi64EEEEEELb0EEENSD_INS4_IJiNS7_IiLi128EEEEEELb0EEEEEENS4_IJSL_SM_SN_SP_SO_EEENS4_IJSR_SP_SO_SS_NSK_IJLi7ELi8EEEEEEENSK_IJLi5ELi6ELi7ELi8EEEElEES14_S14_S14_NS_31BlockToCTileMap_M00_N0_M01AdaptILi64ELi128ES11_iEELb1EEEvPKT0_PKT1_PT2_T3_T4_T5_T6_T7_T8_T9_.kd
    .uniform_work_group_size: 1
    .uses_dynamic_stack: false
    .vgpr_count:     217
    .vgpr_spill_count: 0
    .wavefront_size: 32
    .workgroup_processor_mode: 1
  - .args:
      - .address_space:  global
        .offset:         0
        .size:           8
        .value_kind:     global_buffer
      - .address_space:  global
        .offset:         8
        .size:           8
        .value_kind:     global_buffer
      - .address_space:  global
        .offset:         16
        .size:           8
        .value_kind:     global_buffer
      - .offset:         24
        .size:           72
        .value_kind:     by_value
      - .offset:         96
        .size:           72
        .value_kind:     by_value
      - .offset:         168
        .size:           80
        .value_kind:     by_value
      - .offset:         248
        .size:           1
        .value_kind:     by_value
      - .offset:         249
        .size:           1
        .value_kind:     by_value
      - .offset:         250
        .size:           1
        .value_kind:     by_value
      - .offset:         252
        .size:           12
        .value_kind:     by_value
    .group_segment_fixed_size: 24824
    .kernarg_segment_align: 8
    .kernarg_segment_size: 264
    .language:       OpenCL C
    .language_version:
      - 2
      - 0
    .max_flat_workgroup_size: 256
    .name:           _ZN2ck16kernel_gemm_wmmaINS_17GridwiseGemm_WmmaILi128EttfftLNS_25InMemoryDataOperationEnumE0ENS_16TensorDescriptorINS_5TupleIJNS_5EmbedINS4_IJiiEEENS4_IJiNS_17integral_constantIiLi1EEEEEELb0EEENS_8RightPadIiiLb0EEESC_NS_7UnMergeINS4_IJiNS7_IiLi2EEEEEELb0EEENS_11PassThroughIiEEEEENS4_IJNS_8SequenceIJLi0EEEENSK_IJLi1EEEENSK_IJLi2EEEENSK_IJLi4EEEENSK_IJLi3EEEEEEENS4_IJNSK_IJLi1ELi2EEEESP_SO_NSK_IJLi5ELi6EEEENSK_IJLi7EEEEEEENSK_IJLi5ELi7ELi6EEEElEESW_NS3_INS4_IJSA_SC_SC_EEENS4_IJSL_SM_SN_EEENS4_IJSR_SP_SO_EEENSK_IJLi3ELi4EEEElEENS_16tensor_operation12element_wise11PassThroughES14_S14_Li64ELi128ELi64ELi16ELi16ELi2ELi2ELi4ENSK_IJLi4ELi32ELi1EEEENSK_IJLi1ELi0ELi2EEEES16_Li2ELi2ELi2ELb0ELb1ELb1ES15_S16_S16_Li2ELi2ELi2ELb0ELb1ELb1ELi1ELi1ENSK_IJLi1ELi32ELi1ELi4EEEELi8ELi1ELNS_13LoopSchedulerE0ELNS_15PipelineVersionE0EEEtttSW_SW_NS3_INS4_IJSA_SC_SC_NSD_INS4_IJiNS7_IiLi64EEEEEELb0EEENSD_INS4_IJiNS7_IiLi128EEEEEELb0EEEEEENS4_IJSL_SM_SN_SP_SO_EEENS4_IJSR_SP_SO_SS_NSK_IJLi7ELi8EEEEEEENSK_IJLi5ELi6ELi7ELi8EEEElEES14_S14_S14_NS_31BlockToCTileMap_M00_N0_M01AdaptILi64ELi128ES11_iEELb0EEEvPKT0_PKT1_PT2_T3_T4_T5_T6_T7_T8_T9_
    .private_segment_fixed_size: 0
    .sgpr_count:     56
    .sgpr_spill_count: 0
    .symbol:         _ZN2ck16kernel_gemm_wmmaINS_17GridwiseGemm_WmmaILi128EttfftLNS_25InMemoryDataOperationEnumE0ENS_16TensorDescriptorINS_5TupleIJNS_5EmbedINS4_IJiiEEENS4_IJiNS_17integral_constantIiLi1EEEEEELb0EEENS_8RightPadIiiLb0EEESC_NS_7UnMergeINS4_IJiNS7_IiLi2EEEEEELb0EEENS_11PassThroughIiEEEEENS4_IJNS_8SequenceIJLi0EEEENSK_IJLi1EEEENSK_IJLi2EEEENSK_IJLi4EEEENSK_IJLi3EEEEEEENS4_IJNSK_IJLi1ELi2EEEESP_SO_NSK_IJLi5ELi6EEEENSK_IJLi7EEEEEEENSK_IJLi5ELi7ELi6EEEElEESW_NS3_INS4_IJSA_SC_SC_EEENS4_IJSL_SM_SN_EEENS4_IJSR_SP_SO_EEENSK_IJLi3ELi4EEEElEENS_16tensor_operation12element_wise11PassThroughES14_S14_Li64ELi128ELi64ELi16ELi16ELi2ELi2ELi4ENSK_IJLi4ELi32ELi1EEEENSK_IJLi1ELi0ELi2EEEES16_Li2ELi2ELi2ELb0ELb1ELb1ES15_S16_S16_Li2ELi2ELi2ELb0ELb1ELb1ELi1ELi1ENSK_IJLi1ELi32ELi1ELi4EEEELi8ELi1ELNS_13LoopSchedulerE0ELNS_15PipelineVersionE0EEEtttSW_SW_NS3_INS4_IJSA_SC_SC_NSD_INS4_IJiNS7_IiLi64EEEEEELb0EEENSD_INS4_IJiNS7_IiLi128EEEEEELb0EEEEEENS4_IJSL_SM_SN_SP_SO_EEENS4_IJSR_SP_SO_SS_NSK_IJLi7ELi8EEEEEEENSK_IJLi5ELi6ELi7ELi8EEEElEES14_S14_S14_NS_31BlockToCTileMap_M00_N0_M01AdaptILi64ELi128ES11_iEELb0EEEvPKT0_PKT1_PT2_T3_T4_T5_T6_T7_T8_T9_.kd
    .uniform_work_group_size: 1
    .uses_dynamic_stack: false
    .vgpr_count:     188
    .vgpr_spill_count: 0
    .wavefront_size: 32
    .workgroup_processor_mode: 1
  - .args:
      - .actual_access:  read_only
        .address_space:  global
        .offset:         0
        .size:           8
        .value_kind:     global_buffer
      - .actual_access:  read_only
        .address_space:  global
        .offset:         8
        .size:           8
        .value_kind:     global_buffer
      - .actual_access:  write_only
        .address_space:  global
        .offset:         16
        .size:           8
        .value_kind:     global_buffer
      - .offset:         24
        .size:           4
        .value_kind:     by_value
      - .offset:         28
        .size:           4
        .value_kind:     by_value
      - .offset:         32
        .size:           4
        .value_kind:     by_value
      - .offset:         36
        .size:           1
        .value_kind:     by_value
      - .offset:         37
        .size:           1
        .value_kind:     by_value
      - .offset:         38
        .size:           1
        .value_kind:     by_value
      - .offset:         40
        .size:           4
        .value_kind:     hidden_block_count_x
      - .offset:         44
        .size:           4
        .value_kind:     hidden_block_count_y
      - .offset:         48
        .size:           4
        .value_kind:     hidden_block_count_z
      - .offset:         52
        .size:           2
        .value_kind:     hidden_group_size_x
      - .offset:         54
        .size:           2
        .value_kind:     hidden_group_size_y
      - .offset:         56
        .size:           2
        .value_kind:     hidden_group_size_z
      - .offset:         58
        .size:           2
        .value_kind:     hidden_remainder_x
      - .offset:         60
        .size:           2
        .value_kind:     hidden_remainder_y
      - .offset:         62
        .size:           2
        .value_kind:     hidden_remainder_z
      - .offset:         80
        .size:           8
        .value_kind:     hidden_global_offset_x
      - .offset:         88
        .size:           8
        .value_kind:     hidden_global_offset_y
      - .offset:         96
        .size:           8
        .value_kind:     hidden_global_offset_z
      - .offset:         104
        .size:           2
        .value_kind:     hidden_grid_dims
    .group_segment_fixed_size: 0
    .kernarg_segment_align: 8
    .kernarg_segment_size: 296
    .language:       OpenCL C
    .language_version:
      - 2
      - 0
    .max_flat_workgroup_size: 256
    .name:           _ZN2ck17naive_gemm_kernelINS_13tensor_layout4gemm8RowMajorENS2_11ColumnMajorES3_tttfNS_16tensor_operation12element_wise11PassThroughES7_S7_ttEEvPKT2_PKT3_PT4_iiiT6_T7_T8_
    .private_segment_fixed_size: 0
    .sgpr_count:     18
    .sgpr_spill_count: 0
    .symbol:         _ZN2ck17naive_gemm_kernelINS_13tensor_layout4gemm8RowMajorENS2_11ColumnMajorES3_tttfNS_16tensor_operation12element_wise11PassThroughES7_S7_ttEEvPKT2_PKT3_PT4_iiiT6_T7_T8_.kd
    .uniform_work_group_size: 1
    .uses_dynamic_stack: false
    .vgpr_count:     9
    .vgpr_spill_count: 0
    .wavefront_size: 32
    .workgroup_processor_mode: 1
amdhsa.target:   amdgcn-amd-amdhsa--gfx1100
amdhsa.version:
  - 1
  - 2
...

	.end_amdgpu_metadata
